;; amdgpu-corpus repo=ROCm/rocFFT kind=compiled arch=gfx1030 opt=O3
	.text
	.amdgcn_target "amdgcn-amd-amdhsa--gfx1030"
	.amdhsa_code_object_version 6
	.protected	fft_rtc_fwd_len1155_factors_11_5_7_3_wgs_55_tpt_55_halfLds_sp_op_CI_CI_unitstride_sbrr_dirReg ; -- Begin function fft_rtc_fwd_len1155_factors_11_5_7_3_wgs_55_tpt_55_halfLds_sp_op_CI_CI_unitstride_sbrr_dirReg
	.globl	fft_rtc_fwd_len1155_factors_11_5_7_3_wgs_55_tpt_55_halfLds_sp_op_CI_CI_unitstride_sbrr_dirReg
	.p2align	8
	.type	fft_rtc_fwd_len1155_factors_11_5_7_3_wgs_55_tpt_55_halfLds_sp_op_CI_CI_unitstride_sbrr_dirReg,@function
fft_rtc_fwd_len1155_factors_11_5_7_3_wgs_55_tpt_55_halfLds_sp_op_CI_CI_unitstride_sbrr_dirReg: ; @fft_rtc_fwd_len1155_factors_11_5_7_3_wgs_55_tpt_55_halfLds_sp_op_CI_CI_unitstride_sbrr_dirReg
; %bb.0:
	s_clause 0x2
	s_load_dwordx4 s[12:15], s[4:5], 0x0
	s_load_dwordx4 s[8:11], s[4:5], 0x58
	;; [unrolled: 1-line block ×3, first 2 shown]
	v_mul_u32_u24_e32 v2, 0x4a8, v0
	v_mov_b32_e32 v1, 0
	v_mov_b32_e32 v4, 0
	;; [unrolled: 1-line block ×3, first 2 shown]
	v_add_nc_u32_sdwa v6, s6, v2 dst_sel:DWORD dst_unused:UNUSED_PAD src0_sel:DWORD src1_sel:WORD_1
	v_mov_b32_e32 v7, v1
	s_waitcnt lgkmcnt(0)
	v_cmp_lt_u64_e64 s0, s[14:15], 2
	s_and_b32 vcc_lo, exec_lo, s0
	s_cbranch_vccnz .LBB0_8
; %bb.1:
	s_load_dwordx2 s[0:1], s[4:5], 0x10
	v_mov_b32_e32 v4, 0
	v_mov_b32_e32 v5, 0
	s_add_u32 s2, s18, 8
	s_addc_u32 s3, s19, 0
	s_add_u32 s6, s16, 8
	s_addc_u32 s7, s17, 0
	v_mov_b32_e32 v9, v5
	v_mov_b32_e32 v8, v4
	s_mov_b64 s[22:23], 1
	s_waitcnt lgkmcnt(0)
	s_add_u32 s20, s0, 8
	s_addc_u32 s21, s1, 0
.LBB0_2:                                ; =>This Inner Loop Header: Depth=1
	s_load_dwordx2 s[24:25], s[20:21], 0x0
                                        ; implicit-def: $vgpr10_vgpr11
	s_mov_b32 s0, exec_lo
	s_waitcnt lgkmcnt(0)
	v_or_b32_e32 v2, s25, v7
	v_cmpx_ne_u64_e32 0, v[1:2]
	s_xor_b32 s1, exec_lo, s0
	s_cbranch_execz .LBB0_4
; %bb.3:                                ;   in Loop: Header=BB0_2 Depth=1
	v_cvt_f32_u32_e32 v2, s24
	v_cvt_f32_u32_e32 v3, s25
	s_sub_u32 s0, 0, s24
	s_subb_u32 s26, 0, s25
	v_fmac_f32_e32 v2, 0x4f800000, v3
	v_rcp_f32_e32 v2, v2
	v_mul_f32_e32 v2, 0x5f7ffffc, v2
	v_mul_f32_e32 v3, 0x2f800000, v2
	v_trunc_f32_e32 v3, v3
	v_fmac_f32_e32 v2, 0xcf800000, v3
	v_cvt_u32_f32_e32 v3, v3
	v_cvt_u32_f32_e32 v2, v2
	v_mul_lo_u32 v10, s0, v3
	v_mul_hi_u32 v11, s0, v2
	v_mul_lo_u32 v12, s26, v2
	v_add_nc_u32_e32 v10, v11, v10
	v_mul_lo_u32 v11, s0, v2
	v_add_nc_u32_e32 v10, v10, v12
	v_mul_hi_u32 v12, v2, v11
	v_mul_lo_u32 v13, v2, v10
	v_mul_hi_u32 v14, v2, v10
	v_mul_hi_u32 v15, v3, v11
	v_mul_lo_u32 v11, v3, v11
	v_mul_hi_u32 v16, v3, v10
	v_mul_lo_u32 v10, v3, v10
	v_add_co_u32 v12, vcc_lo, v12, v13
	v_add_co_ci_u32_e32 v13, vcc_lo, 0, v14, vcc_lo
	v_add_co_u32 v11, vcc_lo, v12, v11
	v_add_co_ci_u32_e32 v11, vcc_lo, v13, v15, vcc_lo
	v_add_co_ci_u32_e32 v12, vcc_lo, 0, v16, vcc_lo
	v_add_co_u32 v10, vcc_lo, v11, v10
	v_add_co_ci_u32_e32 v11, vcc_lo, 0, v12, vcc_lo
	v_add_co_u32 v2, vcc_lo, v2, v10
	v_add_co_ci_u32_e32 v3, vcc_lo, v3, v11, vcc_lo
	v_mul_hi_u32 v10, s0, v2
	v_mul_lo_u32 v12, s26, v2
	v_mul_lo_u32 v11, s0, v3
	v_add_nc_u32_e32 v10, v10, v11
	v_mul_lo_u32 v11, s0, v2
	v_add_nc_u32_e32 v10, v10, v12
	v_mul_hi_u32 v12, v2, v11
	v_mul_lo_u32 v13, v2, v10
	v_mul_hi_u32 v14, v2, v10
	v_mul_hi_u32 v15, v3, v11
	v_mul_lo_u32 v11, v3, v11
	v_mul_hi_u32 v16, v3, v10
	v_mul_lo_u32 v10, v3, v10
	v_add_co_u32 v12, vcc_lo, v12, v13
	v_add_co_ci_u32_e32 v13, vcc_lo, 0, v14, vcc_lo
	v_add_co_u32 v11, vcc_lo, v12, v11
	v_add_co_ci_u32_e32 v11, vcc_lo, v13, v15, vcc_lo
	v_add_co_ci_u32_e32 v12, vcc_lo, 0, v16, vcc_lo
	v_add_co_u32 v10, vcc_lo, v11, v10
	v_add_co_ci_u32_e32 v11, vcc_lo, 0, v12, vcc_lo
	v_add_co_u32 v10, vcc_lo, v2, v10
	v_add_co_ci_u32_e32 v12, vcc_lo, v3, v11, vcc_lo
	v_mul_hi_u32 v14, v6, v10
	v_mad_u64_u32 v[10:11], null, v7, v10, 0
	v_mad_u64_u32 v[2:3], null, v6, v12, 0
	;; [unrolled: 1-line block ×3, first 2 shown]
	v_add_co_u32 v2, vcc_lo, v14, v2
	v_add_co_ci_u32_e32 v3, vcc_lo, 0, v3, vcc_lo
	v_add_co_u32 v2, vcc_lo, v2, v10
	v_add_co_ci_u32_e32 v2, vcc_lo, v3, v11, vcc_lo
	v_add_co_ci_u32_e32 v3, vcc_lo, 0, v13, vcc_lo
	v_add_co_u32 v10, vcc_lo, v2, v12
	v_add_co_ci_u32_e32 v11, vcc_lo, 0, v3, vcc_lo
	v_mul_lo_u32 v12, s25, v10
	v_mad_u64_u32 v[2:3], null, s24, v10, 0
	v_mul_lo_u32 v13, s24, v11
	v_sub_co_u32 v2, vcc_lo, v6, v2
	v_add3_u32 v3, v3, v13, v12
	v_sub_nc_u32_e32 v12, v7, v3
	v_subrev_co_ci_u32_e64 v12, s0, s25, v12, vcc_lo
	v_add_co_u32 v13, s0, v10, 2
	v_add_co_ci_u32_e64 v14, s0, 0, v11, s0
	v_sub_co_u32 v15, s0, v2, s24
	v_sub_co_ci_u32_e32 v3, vcc_lo, v7, v3, vcc_lo
	v_subrev_co_ci_u32_e64 v12, s0, 0, v12, s0
	v_cmp_le_u32_e32 vcc_lo, s24, v15
	v_cmp_eq_u32_e64 s0, s25, v3
	v_cndmask_b32_e64 v15, 0, -1, vcc_lo
	v_cmp_le_u32_e32 vcc_lo, s25, v12
	v_cndmask_b32_e64 v16, 0, -1, vcc_lo
	v_cmp_le_u32_e32 vcc_lo, s24, v2
	;; [unrolled: 2-line block ×3, first 2 shown]
	v_cndmask_b32_e64 v17, 0, -1, vcc_lo
	v_cmp_eq_u32_e32 vcc_lo, s25, v12
	v_cndmask_b32_e64 v2, v17, v2, s0
	v_cndmask_b32_e32 v12, v16, v15, vcc_lo
	v_add_co_u32 v15, vcc_lo, v10, 1
	v_add_co_ci_u32_e32 v16, vcc_lo, 0, v11, vcc_lo
	v_cmp_ne_u32_e32 vcc_lo, 0, v12
	v_cndmask_b32_e32 v3, v16, v14, vcc_lo
	v_cndmask_b32_e32 v12, v15, v13, vcc_lo
	v_cmp_ne_u32_e32 vcc_lo, 0, v2
	v_cndmask_b32_e32 v11, v11, v3, vcc_lo
	v_cndmask_b32_e32 v10, v10, v12, vcc_lo
.LBB0_4:                                ;   in Loop: Header=BB0_2 Depth=1
	s_andn2_saveexec_b32 s0, s1
	s_cbranch_execz .LBB0_6
; %bb.5:                                ;   in Loop: Header=BB0_2 Depth=1
	v_cvt_f32_u32_e32 v2, s24
	s_sub_i32 s1, 0, s24
	v_rcp_iflag_f32_e32 v2, v2
	v_mul_f32_e32 v2, 0x4f7ffffe, v2
	v_cvt_u32_f32_e32 v2, v2
	v_mul_lo_u32 v3, s1, v2
	v_mul_hi_u32 v3, v2, v3
	v_add_nc_u32_e32 v2, v2, v3
	v_mul_hi_u32 v2, v6, v2
	v_mul_lo_u32 v3, v2, s24
	v_add_nc_u32_e32 v10, 1, v2
	v_sub_nc_u32_e32 v3, v6, v3
	v_subrev_nc_u32_e32 v11, s24, v3
	v_cmp_le_u32_e32 vcc_lo, s24, v3
	v_cndmask_b32_e32 v3, v3, v11, vcc_lo
	v_cndmask_b32_e32 v2, v2, v10, vcc_lo
	v_mov_b32_e32 v11, v1
	v_cmp_le_u32_e32 vcc_lo, s24, v3
	v_add_nc_u32_e32 v10, 1, v2
	v_cndmask_b32_e32 v10, v2, v10, vcc_lo
.LBB0_6:                                ;   in Loop: Header=BB0_2 Depth=1
	s_or_b32 exec_lo, exec_lo, s0
	v_mul_lo_u32 v12, v11, s24
	v_mul_lo_u32 v13, v10, s25
	s_load_dwordx2 s[0:1], s[6:7], 0x0
	v_mad_u64_u32 v[2:3], null, v10, s24, 0
	s_load_dwordx2 s[24:25], s[2:3], 0x0
	s_add_u32 s22, s22, 1
	s_addc_u32 s23, s23, 0
	s_add_u32 s2, s2, 8
	s_addc_u32 s3, s3, 0
	s_add_u32 s6, s6, 8
	v_add3_u32 v3, v3, v13, v12
	v_sub_co_u32 v2, vcc_lo, v6, v2
	s_addc_u32 s7, s7, 0
	s_add_u32 s20, s20, 8
	v_sub_co_ci_u32_e32 v3, vcc_lo, v7, v3, vcc_lo
	s_addc_u32 s21, s21, 0
	s_waitcnt lgkmcnt(0)
	v_mul_lo_u32 v6, s0, v3
	v_mul_lo_u32 v7, s1, v2
	v_mad_u64_u32 v[4:5], null, s0, v2, v[4:5]
	v_mul_lo_u32 v3, s24, v3
	v_mul_lo_u32 v12, s25, v2
	v_mad_u64_u32 v[8:9], null, s24, v2, v[8:9]
	v_cmp_ge_u64_e64 s0, s[22:23], s[14:15]
	v_add3_u32 v5, v7, v5, v6
	v_add3_u32 v9, v12, v9, v3
	s_and_b32 vcc_lo, exec_lo, s0
	s_cbranch_vccnz .LBB0_9
; %bb.7:                                ;   in Loop: Header=BB0_2 Depth=1
	v_mov_b32_e32 v6, v10
	v_mov_b32_e32 v7, v11
	s_branch .LBB0_2
.LBB0_8:
	v_mov_b32_e32 v9, v5
	v_mov_b32_e32 v11, v7
	;; [unrolled: 1-line block ×4, first 2 shown]
.LBB0_9:
	s_load_dwordx2 s[0:1], s[4:5], 0x28
	v_mul_hi_u32 v1, 0x4a7904b, v0
	s_lshl_b64 s[4:5], s[14:15], 3
                                        ; implicit-def: $sgpr6
                                        ; implicit-def: $vgpr74
	s_add_u32 s2, s18, s4
	s_addc_u32 s3, s19, s5
	s_waitcnt lgkmcnt(0)
	v_cmp_gt_u64_e32 vcc_lo, s[0:1], v[10:11]
	v_cmp_le_u64_e64 s0, s[0:1], v[10:11]
	s_and_saveexec_b32 s1, s0
	s_xor_b32 s0, exec_lo, s1
; %bb.10:
	v_mul_u32_u24_e32 v1, 55, v1
	s_mov_b32 s6, 0
                                        ; implicit-def: $vgpr4_vgpr5
	v_sub_nc_u32_e32 v74, v0, v1
                                        ; implicit-def: $vgpr1
                                        ; implicit-def: $vgpr0
; %bb.11:
	s_or_saveexec_b32 s1, s0
	s_load_dwordx2 s[2:3], s[2:3], 0x0
	v_mov_b32_e32 v3, s6
	v_mov_b32_e32 v2, s6
                                        ; implicit-def: $vgpr63
                                        ; implicit-def: $vgpr73
                                        ; implicit-def: $vgpr71
                                        ; implicit-def: $vgpr59
                                        ; implicit-def: $vgpr47
                                        ; implicit-def: $vgpr35
                                        ; implicit-def: $vgpr49
                                        ; implicit-def: $vgpr61
                                        ; implicit-def: $vgpr67
                                        ; implicit-def: $vgpr33
                                        ; implicit-def: $vgpr31
                                        ; implicit-def: $vgpr29
                                        ; implicit-def: $vgpr23
                                        ; implicit-def: $vgpr21
                                        ; implicit-def: $vgpr17
                                        ; implicit-def: $vgpr6
                                        ; implicit-def: $vgpr13
                                        ; implicit-def: $vgpr15
                                        ; implicit-def: $vgpr19
                                        ; implicit-def: $vgpr69
                                        ; implicit-def: $vgpr37
	s_xor_b32 exec_lo, exec_lo, s1
	s_cbranch_execz .LBB0_15
; %bb.12:
	s_add_u32 s4, s16, s4
	s_addc_u32 s5, s17, s5
                                        ; implicit-def: $vgpr18
                                        ; implicit-def: $vgpr14
                                        ; implicit-def: $vgpr12
                                        ; implicit-def: $vgpr16
                                        ; implicit-def: $vgpr20
                                        ; implicit-def: $vgpr22
                                        ; implicit-def: $vgpr28
                                        ; implicit-def: $vgpr30
                                        ; implicit-def: $vgpr32
	s_load_dwordx2 s[4:5], s[4:5], 0x0
	s_waitcnt lgkmcnt(0)
	v_mul_lo_u32 v6, s5, v10
	v_mul_lo_u32 v7, s4, v11
	v_mad_u64_u32 v[2:3], null, s4, v10, 0
	s_mov_b32 s4, exec_lo
	v_add3_u32 v3, v3, v7, v6
	v_mul_u32_u24_e32 v6, 55, v1
	v_lshlrev_b64 v[1:2], 3, v[2:3]
	v_lshlrev_b64 v[3:4], 3, v[4:5]
	v_sub_nc_u32_e32 v74, v0, v6
                                        ; implicit-def: $vgpr5
	v_add_co_u32 v0, s0, s8, v1
	v_add_co_ci_u32_e64 v1, s0, s9, v2, s0
	v_lshlrev_b32_e32 v2, 3, v74
	v_add_co_u32 v0, s0, v0, v3
	v_add_co_ci_u32_e64 v1, s0, v1, v4, s0
	v_mov_b32_e32 v3, 0
	v_add_co_u32 v38, s0, v0, v2
	v_add_co_ci_u32_e64 v39, s0, 0, v1, s0
	v_mov_b32_e32 v2, 0
	v_add_co_u32 v6, s0, 0x800, v38
	v_add_co_ci_u32_e64 v7, s0, 0, v39, s0
	v_add_co_u32 v24, s0, 0x1000, v38
	v_add_co_ci_u32_e64 v25, s0, 0, v39, s0
	;; [unrolled: 2-line block ×4, first 2 shown]
	s_clause 0xa
	global_load_dwordx2 v[62:63], v[38:39], off
	global_load_dwordx2 v[72:73], v[38:39], off offset:840
	global_load_dwordx2 v[70:71], v[38:39], off offset:1680
	;; [unrolled: 1-line block ×10, first 2 shown]
	v_cmpx_gt_u32_e32 50, v74
; %bb.13:
	s_clause 0xa
	global_load_dwordx2 v[2:3], v[38:39], off offset:440
	global_load_dwordx2 v[32:33], v[38:39], off offset:1280
	;; [unrolled: 1-line block ×11, first 2 shown]
; %bb.14:
	s_or_b32 exec_lo, exec_lo, s4
.LBB0_15:
	s_or_b32 exec_lo, exec_lo, s1
	s_waitcnt vmcnt(0)
	v_add_f32_e32 v45, v32, v5
	v_sub_f32_e32 v51, v33, v6
	v_add_f32_e32 v26, v30, v12
	v_sub_f32_e32 v52, v31, v13
	v_add_f32_e32 v38, v28, v14
	v_mul_f32_e32 v25, 0x3f575c64, v45
	v_mul_f32_e32 v39, 0x3ed4b147, v45
	;; [unrolled: 1-line block ×4, first 2 shown]
	v_sub_f32_e32 v54, v29, v15
	v_fmamk_f32 v0, v51, 0xbf0a6770, v25
	v_fmamk_f32 v1, v51, 0xbf68dda4, v39
	v_mul_f32_e32 v4, 0xbe11bafb, v38
	v_mul_f32_e32 v40, 0xbf75a155, v38
	v_fmamk_f32 v7, v52, 0xbf68dda4, v24
	v_add_f32_e32 v0, v2, v0
	v_fmamk_f32 v41, v52, 0xbf4178ce, v27
	v_add_f32_e32 v1, v2, v1
	v_add_f32_e32 v42, v22, v16
	v_fmamk_f32 v43, v54, 0xbf7d64f0, v4
	v_add_f32_e32 v0, v0, v7
	v_fmamk_f32 v7, v54, 0x3e903f40, v40
	v_add_f32_e32 v1, v1, v41
	v_sub_f32_e32 v56, v23, v17
	v_mul_f32_e32 v41, 0xbf27a4f4, v42
	v_add_f32_e32 v44, v20, v18
	v_add_f32_e32 v0, v0, v43
	v_mul_f32_e32 v43, 0xbe11bafb, v42
	v_add_f32_e32 v1, v1, v7
	v_fmamk_f32 v7, v56, 0xbf4178ce, v41
	v_sub_f32_e32 v53, v21, v19
	v_mul_f32_e32 v50, 0xbf75a155, v44
	v_add_f32_e32 v57, v68, v72
	v_fmamk_f32 v55, v56, 0x3f7d64f0, v43
	v_add_f32_e32 v0, v7, v0
	v_sub_f32_e32 v64, v73, v69
	v_fmamk_f32 v7, v53, 0xbe903f40, v50
	v_mul_f32_e32 v65, 0x3f575c64, v57
	v_add_f32_e32 v75, v70, v66
	v_add_f32_e32 v76, v55, v1
	v_sub_f32_e32 v77, v71, v67
	v_add_f32_e32 v1, v0, v7
	v_add_f32_e32 v0, v62, v72
	v_fmamk_f32 v55, v64, 0x3f0a6770, v65
	v_mul_f32_e32 v78, 0x3ed4b147, v75
	v_add_f32_e32 v79, v58, v60
	v_sub_f32_e32 v81, v59, v61
	v_add_f32_e32 v0, v0, v70
	v_add_f32_e32 v7, v55, v62
	v_fmamk_f32 v80, v77, 0x3f68dda4, v78
	v_mul_f32_e32 v82, 0xbe11bafb, v79
	v_add_f32_e32 v83, v46, v48
	v_add_f32_e32 v0, v0, v58
	v_mul_f32_e32 v55, 0x3f575c64, v44
	v_add_f32_e32 v7, v80, v7
	v_fmamk_f32 v80, v81, 0x3f7d64f0, v82
	v_sub_f32_e32 v84, v47, v49
	v_mul_f32_e32 v85, 0xbf27a4f4, v83
	v_add_f32_e32 v87, v36, v34
	v_add_f32_e32 v0, v0, v46
	v_fmamk_f32 v86, v53, 0x3f0a6770, v55
	v_add_f32_e32 v7, v80, v7
	v_fmamk_f32 v80, v84, 0x3f4178ce, v85
	v_sub_f32_e32 v88, v35, v37
	v_mul_f32_e32 v89, 0xbf75a155, v87
	v_add_f32_e32 v90, v0, v34
	v_mul_f32_e32 v91, 0x3ed4b147, v57
	v_add_f32_e32 v0, v76, v86
	v_add_f32_e32 v7, v80, v7
	v_fmamk_f32 v76, v88, 0x3e903f40, v89
	v_add_f32_e32 v80, v90, v36
	v_fmamk_f32 v86, v64, 0x3f68dda4, v91
	v_mul_f32_e32 v90, 0xbf27a4f4, v75
	v_mul_f32_e32 v92, 0xbe11bafb, v57
	v_add_f32_e32 v76, v76, v7
	v_add_f32_e32 v7, v80, v48
	;; [unrolled: 1-line block ×3, first 2 shown]
	v_fmamk_f32 v86, v77, 0x3f4178ce, v90
	v_fmamk_f32 v93, v64, 0x3f7d64f0, v92
	v_mul_f32_e32 v94, 0xbf75a155, v75
	v_mul_f32_e32 v95, 0xbf75a155, v79
	;; [unrolled: 1-line block ×3, first 2 shown]
	v_add_f32_e32 v80, v86, v80
	v_add_f32_e32 v86, v93, v62
	v_fmamk_f32 v93, v77, 0xbe903f40, v94
	v_fmamk_f32 v96, v81, 0xbe903f40, v95
	v_mul_f32_e32 v98, 0xbe11bafb, v83
	v_mul_f32_e32 v99, 0x3f575c64, v83
	;; [unrolled: 1-line block ×3, first 2 shown]
	v_add_f32_e32 v86, v93, v86
	v_add_f32_e32 v80, v96, v80
	v_fmamk_f32 v93, v81, 0xbf68dda4, v97
	v_fmamk_f32 v96, v84, 0xbf7d64f0, v98
	v_mul_f32_e32 v102, 0xbf27a4f4, v57
	v_mul_f32_e32 v57, 0xbf75a155, v57
	v_add_f32_e32 v7, v7, v60
	v_add_f32_e32 v86, v93, v86
	;; [unrolled: 1-line block ×3, first 2 shown]
	v_fmamk_f32 v93, v84, 0x3f0a6770, v99
	v_fmamk_f32 v96, v88, 0xbf0a6770, v100
	;; [unrolled: 1-line block ×3, first 2 shown]
	v_mul_f32_e32 v107, 0x3f575c64, v79
	v_mul_f32_e32 v104, 0xbf27a4f4, v87
	v_add_f32_e32 v86, v93, v86
	v_add_f32_e32 v80, v96, v80
	v_fmamk_f32 v93, v64, 0x3f4178ce, v102
	v_mul_f32_e32 v96, 0xbe11bafb, v75
	v_mul_f32_e32 v75, 0x3f575c64, v75
	v_add_f32_e32 v103, v103, v62
	v_add_f32_e32 v7, v7, v66
	v_add_f32_e32 v93, v93, v62
	v_fmamk_f32 v105, v77, 0xbf7d64f0, v96
	v_fmamk_f32 v106, v77, 0xbf0a6770, v75
	v_mul_f32_e32 v79, 0xbf27a4f4, v79
	v_fmamk_f32 v108, v88, 0x3f4178ce, v104
	v_add_f32_e32 v101, v68, v7
	v_add_f32_e32 v93, v105, v93
	;; [unrolled: 1-line block ×3, first 2 shown]
	v_fmamk_f32 v105, v81, 0x3f0a6770, v107
	v_mul_f32_e32 v106, 0xbf75a155, v83
	v_mad_u32_u24 v7, v74, 44, 0
	v_fmamk_f32 v109, v81, 0x3f4178ce, v79
	v_mul_f32_e32 v83, 0x3ed4b147, v83
	v_add_f32_e32 v93, v105, v93
	v_fmamk_f32 v105, v84, 0x3e903f40, v106
	v_fmac_f32_e32 v102, 0xbf4178ce, v64
	v_fmac_f32_e32 v57, 0xbe903f40, v64
	v_add_f32_e32 v86, v108, v86
	v_add_f32_e32 v103, v109, v103
	v_fmamk_f32 v108, v84, 0xbf68dda4, v83
	ds_write2_b32 v7, v101, v76 offset1:1
	ds_write2_b32 v7, v80, v86 offset0:2 offset1:3
	v_add_f32_e32 v76, v105, v93
	v_mul_f32_e32 v86, 0x3ed4b147, v87
	v_mul_f32_e32 v87, 0xbe11bafb, v87
	v_add_f32_e32 v93, v102, v62
	v_fmac_f32_e32 v96, 0x3f7d64f0, v77
	v_add_f32_e32 v57, v57, v62
	v_fmac_f32_e32 v75, 0x3f0a6770, v77
	v_add_f32_e32 v80, v108, v103
	v_fmamk_f32 v102, v88, 0x3f7d64f0, v87
	v_add_f32_e32 v93, v96, v93
	v_fmac_f32_e32 v107, 0xbf0a6770, v81
	v_add_f32_e32 v57, v75, v57
	v_fmac_f32_e32 v79, 0xbf4178ce, v81
	;; [unrolled: 2-line block ×5, first 2 shown]
	v_fmac_f32_e32 v92, 0xbf7d64f0, v64
	v_fmac_f32_e32 v65, 0xbf0a6770, v64
	v_add_f32_e32 v79, v106, v80
	v_add_f32_e32 v80, v91, v62
	v_fmac_f32_e32 v90, 0xbf4178ce, v77
	v_add_f32_e32 v57, v83, v57
	v_add_f32_e32 v83, v92, v62
	v_fmac_f32_e32 v94, 0x3e903f40, v77
	v_fmac_f32_e32 v78, 0xbf68dda4, v77
	v_add_f32_e32 v62, v65, v62
	v_add_f32_e32 v64, v90, v80
	v_fmac_f32_e32 v95, 0x3e903f40, v81
	v_add_f32_e32 v65, v94, v83
	v_fmac_f32_e32 v97, 0x3f68dda4, v81
	;; [unrolled: 2-line block ×6, first 2 shown]
	v_fmamk_f32 v101, v88, 0xbf68dda4, v86
	v_fmac_f32_e32 v86, 0x3f68dda4, v88
	v_fmac_f32_e32 v87, 0xbf7d64f0, v88
	v_add_f32_e32 v64, v98, v64
	v_add_f32_e32 v65, v99, v65
	v_fmac_f32_e32 v100, 0x3f0a6770, v88
	v_fmac_f32_e32 v104, 0xbf4178ce, v88
	v_add_f32_e32 v62, v85, v62
	v_fmac_f32_e32 v89, 0xbe903f40, v88
	v_add_f32_e32 v76, v101, v76
	v_cmp_gt_u32_e64 s1, 50, v74
	v_add_f32_e32 v77, v86, v79
	v_add_f32_e32 v57, v87, v57
	;; [unrolled: 1-line block ×5, first 2 shown]
	ds_write2_b32 v7, v76, v75 offset0:4 offset1:5
	ds_write2_b32 v7, v57, v77 offset0:6 offset1:7
	;; [unrolled: 1-line block ×3, first 2 shown]
	ds_write_b32 v7, v62 offset:40
	s_and_saveexec_b32 s0, s1
	s_cbranch_execz .LBB0_17
; %bb.16:
	v_mul_f32_e32 v57, 0xbe903f40, v51
	v_mul_f32_e32 v77, 0x3f0a6770, v52
	v_mul_f32_e32 v82, 0xbf4178ce, v54
	v_mul_f32_e32 v85, 0x3f68dda4, v56
	v_mul_f32_e32 v87, 0xbf4178ce, v51
	v_fmamk_f32 v76, v45, 0xbf75a155, v57
	v_fmamk_f32 v81, v26, 0x3f575c64, v77
	v_fma_f32 v57, 0xbf75a155, v45, -v57
	v_fma_f32 v77, 0x3f575c64, v26, -v77
	v_mul_f32_e32 v90, 0xbf0a6770, v54
	v_add_f32_e32 v76, v2, v76
	v_mul_f32_e32 v62, 0xbf0a6770, v51
	v_add_f32_e32 v57, v2, v57
	v_mul_f32_e32 v64, 0xbf68dda4, v51
	v_mul_f32_e32 v51, 0xbf7d64f0, v51
	v_add_f32_e32 v76, v76, v81
	v_fmamk_f32 v81, v38, 0xbf27a4f4, v82
	v_add_f32_e32 v57, v57, v77
	v_fma_f32 v77, 0xbf27a4f4, v38, -v82
	v_mul_f32_e32 v82, 0x3f7d64f0, v52
	v_mul_f32_e32 v65, 0xbf68dda4, v52
	v_add_f32_e32 v76, v76, v81
	v_fmamk_f32 v81, v42, 0x3ed4b147, v85
	v_add_f32_e32 v57, v57, v77
	v_fma_f32 v77, 0x3ed4b147, v42, -v85
	v_fmamk_f32 v85, v26, 0xbe11bafb, v82
	v_fma_f32 v82, 0xbe11bafb, v26, -v82
	v_add_f32_e32 v76, v81, v76
	v_fmamk_f32 v81, v45, 0xbf27a4f4, v87
	v_add_f32_e32 v57, v77, v57
	v_fma_f32 v77, 0xbf27a4f4, v45, -v87
	v_mul_f32_e32 v87, 0xbe903f40, v56
	v_mul_f32_e32 v75, 0xbf4178ce, v52
	v_add_f32_e32 v81, v2, v81
	v_mul_f32_e32 v52, 0x3e903f40, v52
	v_add_f32_e32 v77, v2, v77
	v_mul_f32_e32 v78, 0xbf7d64f0, v54
	v_mul_f32_e32 v79, 0x3e903f40, v54
	v_add_f32_e32 v81, v81, v85
	v_fmamk_f32 v85, v38, 0x3f575c64, v90
	v_add_f32_e32 v77, v77, v82
	v_fma_f32 v82, 0x3f575c64, v38, -v90
	v_mul_f32_e32 v54, 0x3f68dda4, v54
	v_sub_f32_e32 v39, v39, v64
	v_add_f32_e32 v81, v81, v85
	v_fmamk_f32 v85, v42, 0xbf75a155, v87
	v_add_f32_e32 v77, v77, v82
	v_fma_f32 v82, 0xbf75a155, v42, -v87
	v_fmamk_f32 v87, v26, 0xbf75a155, v52
	v_fma_f32 v26, 0xbf75a155, v26, -v52
	v_add_f32_e32 v81, v85, v81
	v_fmamk_f32 v85, v45, 0xbe11bafb, v51
	v_add_f32_e32 v77, v82, v77
	v_fma_f32 v45, 0xbe11bafb, v45, -v51
	v_sub_f32_e32 v25, v25, v62
	v_mul_f32_e32 v88, 0xbf7d64f0, v53
	v_add_f32_e32 v85, v2, v85
	v_sub_f32_e32 v24, v24, v65
	v_add_f32_e32 v45, v2, v45
	v_mul_f32_e32 v80, 0xbf4178ce, v56
	v_mul_f32_e32 v83, 0x3f7d64f0, v56
	v_add_f32_e32 v82, v85, v87
	v_add_f32_e32 v87, v2, v32
	;; [unrolled: 1-line block ×3, first 2 shown]
	v_fmamk_f32 v85, v38, 0x3ed4b147, v54
	v_fma_f32 v38, 0x3ed4b147, v38, -v54
	v_mul_f32_e32 v56, 0xbf0a6770, v56
	v_add_f32_e32 v52, v87, v30
	v_sub_f32_e32 v27, v27, v75
	v_fmamk_f32 v89, v44, 0xbe11bafb, v88
	v_add_f32_e32 v26, v26, v38
	v_add_f32_e32 v38, v2, v39
	;; [unrolled: 1-line block ×4, first 2 shown]
	v_sub_f32_e32 v4, v4, v78
	v_fma_f32 v39, 0x3f575c64, v42, -v56
	v_add_f32_e32 v27, v38, v27
	v_add_f32_e32 v45, v45, v22
	;; [unrolled: 1-line block ×3, first 2 shown]
	v_sub_f32_e32 v38, v40, v79
	v_add_f32_e32 v76, v76, v89
	v_mul_f32_e32 v89, 0x3f68dda4, v53
	v_add_f32_e32 v25, v45, v20
	v_mul_f32_e32 v84, 0xbe903f40, v53
	v_add_f32_e32 v2, v2, v4
	v_sub_f32_e32 v4, v41, v80
	v_mul_f32_e32 v86, 0x3f0a6770, v53
	v_add_f32_e32 v25, v25, v18
	v_mul_f32_e32 v53, 0xbf4178ce, v53
	v_add_f32_e32 v24, v39, v26
	v_add_f32_e32 v26, v27, v38
	v_sub_f32_e32 v27, v43, v83
	v_add_f32_e32 v25, v16, v25
	v_fma_f32 v51, 0x3ed4b147, v44, -v89
	v_add_f32_e32 v82, v82, v85
	v_fmamk_f32 v85, v42, 0x3f575c64, v56
	v_add_f32_e32 v2, v4, v2
	v_add_f32_e32 v25, v14, v25
	v_sub_f32_e32 v4, v50, v84
	v_fma_f32 v38, 0xbf27a4f4, v44, -v53
	v_add_f32_e32 v26, v27, v26
	v_sub_f32_e32 v27, v55, v86
	v_add_f32_e32 v25, v12, v25
	v_fma_f32 v88, 0xbe11bafb, v44, -v88
	v_fmamk_f32 v90, v44, 0x3ed4b147, v89
	v_add_f32_e32 v51, v77, v51
	v_add_f32_e32 v77, v85, v82
	v_fmamk_f32 v52, v44, 0xbf27a4f4, v53
	v_add_f32_e32 v2, v2, v4
	v_add_f32_e32 v4, v5, v25
	v_add_nc_u32_e32 v25, 0x974, v7
	v_add_f32_e32 v24, v24, v38
	v_add_f32_e32 v26, v26, v27
	v_add_nc_u32_e32 v27, 0x97c, v7
	v_add_f32_e32 v57, v57, v88
	v_add_nc_u32_e32 v38, 0x984, v7
	;; [unrolled: 2-line block ×4, first 2 shown]
	ds_write2_b32 v25, v4, v2 offset1:1
	ds_write2_b32 v27, v26, v24 offset1:1
	;; [unrolled: 1-line block ×5, first 2 shown]
	ds_write_b32 v7, v1 offset:2460
.LBB0_17:
	s_or_b32 exec_lo, exec_lo, s0
	v_mad_i32_i24 v62, 0xffffffd8, v74, v7
	s_waitcnt lgkmcnt(0)
	s_barrier
	buffer_gl0_inv
	v_cmp_gt_u32_e64 s0, 11, v74
	v_add_nc_u32_e32 v2, 0x200, v62
	v_add_nc_u32_e32 v4, 0x600, v62
	;; [unrolled: 1-line block ×3, first 2 shown]
	ds_read2_b32 v[24:25], v62 offset1:55
	v_add_nc_u32_e32 v39, 0xc00, v62
	ds_read2_b32 v[52:53], v2 offset0:103 offset1:158
	ds_read2_b32 v[50:51], v4 offset0:78 offset1:133
	v_add_nc_u32_e32 v2, 0x400, v62
	v_add_nc_u32_e32 v4, 0x1000, v62
	ds_read2_b32 v[56:57], v38 offset0:181 offset1:236
	ds_read2_b32 v[54:55], v39 offset0:156 offset1:211
	;; [unrolled: 1-line block ×7, first 2 shown]
                                        ; implicit-def: $vgpr75
                                        ; implicit-def: $vgpr65
	s_and_saveexec_b32 s4, s0
	s_cbranch_execz .LBB0_19
; %bb.18:
	v_add_nc_u32_e32 v0, 0x340, v62
	v_add_nc_u32_e32 v2, 0xa80, v62
	ds_read2_b32 v[0:1], v0 offset0:12 offset1:243
	ds_read2_b32 v[64:65], v2 offset0:10 offset1:241
	ds_read_b32 v75, v62 offset:4576
.LBB0_19:
	s_or_b32 exec_lo, exec_lo, s4
	v_add_f32_e32 v2, v63, v73
	v_sub_f32_e32 v4, v72, v68
	v_add_f32_e32 v68, v69, v73
	v_sub_f32_e32 v66, v70, v66
	v_add_f32_e32 v72, v71, v67
	v_add_f32_e32 v2, v2, v71
	v_mul_f32_e32 v70, 0xbf0a6770, v4
	v_mul_f32_e32 v71, 0xbf68dda4, v4
	;; [unrolled: 1-line block ×4, first 2 shown]
	v_add_f32_e32 v2, v2, v59
	v_mul_f32_e32 v4, 0xbe903f40, v4
	v_mul_f32_e32 v77, 0xbf68dda4, v66
	v_fmamk_f32 v80, v68, 0x3f575c64, v70
	v_fma_f32 v70, 0x3f575c64, v68, -v70
	v_add_f32_e32 v2, v2, v47
	v_mul_f32_e32 v78, 0xbf4178ce, v66
	v_fmamk_f32 v81, v68, 0x3ed4b147, v71
	v_fma_f32 v71, 0x3ed4b147, v68, -v71
	v_fmamk_f32 v82, v68, 0xbe11bafb, v73
	v_add_f32_e32 v2, v2, v35
	v_fma_f32 v73, 0xbe11bafb, v68, -v73
	v_fmamk_f32 v83, v68, 0xbf27a4f4, v76
	v_fma_f32 v76, 0xbf27a4f4, v68, -v76
	v_fmamk_f32 v84, v68, 0xbf75a155, v4
	v_add_f32_e32 v2, v2, v37
	v_fma_f32 v4, 0xbf75a155, v68, -v4
	v_fmamk_f32 v68, v72, 0x3ed4b147, v77
	v_fma_f32 v77, 0x3ed4b147, v72, -v77
	v_add_f32_e32 v80, v80, v63
	v_add_f32_e32 v2, v2, v49
	;; [unrolled: 1-line block ×10, first 2 shown]
	v_mul_f32_e32 v79, 0x3e903f40, v66
	v_add_f32_e32 v2, v2, v67
	v_add_f32_e32 v67, v76, v63
	;; [unrolled: 1-line block ×4, first 2 shown]
	v_sub_f32_e32 v58, v58, v60
	v_add_f32_e32 v68, v69, v2
	v_add_f32_e32 v2, v77, v70
	v_fma_f32 v69, 0xbf27a4f4, v72, -v78
	v_mul_f32_e32 v70, 0x3f7d64f0, v66
	v_mul_f32_e32 v66, 0x3f0a6770, v66
	v_add_f32_e32 v59, v59, v61
	v_mul_f32_e32 v61, 0xbf7d64f0, v58
	v_add_f32_e32 v69, v69, v71
	v_fmamk_f32 v71, v72, 0xbe11bafb, v70
	v_fma_f32 v70, 0xbe11bafb, v72, -v70
	v_fmamk_f32 v85, v72, 0xbf27a4f4, v78
	v_fmamk_f32 v77, v72, 0xbf75a155, v79
	v_fma_f32 v79, 0xbf75a155, v72, -v79
	v_add_f32_e32 v60, v71, v83
	v_fmamk_f32 v71, v72, 0x3f575c64, v66
	v_fma_f32 v66, 0x3f575c64, v72, -v66
	v_add_f32_e32 v67, v70, v67
	;; [unrolled: 3-line block ×3, first 2 shown]
	v_mul_f32_e32 v71, 0x3e903f40, v58
	v_add_f32_e32 v4, v66, v4
	v_mul_f32_e32 v66, 0x3f68dda4, v58
	v_add_f32_e32 v73, v79, v73
	v_add_f32_e32 v2, v61, v2
	v_fmamk_f32 v76, v59, 0xbf75a155, v71
	v_fma_f32 v71, 0xbf75a155, v59, -v71
	v_fmamk_f32 v61, v59, 0x3ed4b147, v66
	v_fma_f32 v66, 0x3ed4b147, v59, -v66
	v_sub_f32_e32 v46, v46, v48
	v_add_f32_e32 v47, v47, v49
	v_add_f32_e32 v69, v71, v69
	v_mul_f32_e32 v71, 0xbf0a6770, v58
	v_mul_f32_e32 v58, 0xbf4178ce, v58
	v_add_f32_e32 v66, v66, v73
	v_mul_f32_e32 v49, 0xbf4178ce, v46
	v_add_f32_e32 v63, v72, v63
	v_fmamk_f32 v48, v59, 0x3f575c64, v71
	v_fma_f32 v71, 0x3f575c64, v59, -v71
	v_fmamk_f32 v73, v59, 0xbf27a4f4, v58
	v_fma_f32 v58, 0xbf27a4f4, v59, -v58
	v_add_f32_e32 v77, v77, v82
	v_add_f32_e32 v48, v48, v60
	;; [unrolled: 1-line block ×4, first 2 shown]
	v_fmamk_f32 v67, v47, 0xbf27a4f4, v49
	v_mul_f32_e32 v70, 0x3f7d64f0, v46
	v_add_f32_e32 v4, v58, v4
	v_fma_f32 v49, 0xbf27a4f4, v47, -v49
	v_mul_f32_e32 v58, 0xbf0a6770, v46
	v_add_f32_e32 v63, v67, v63
	v_fmamk_f32 v67, v47, 0xbe11bafb, v70
	v_fma_f32 v70, 0xbe11bafb, v47, -v70
	v_add_f32_e32 v2, v49, v2
	v_fmamk_f32 v49, v47, 0x3f575c64, v58
	v_fma_f32 v58, 0x3f575c64, v47, -v58
	v_sub_f32_e32 v34, v34, v36
	v_mul_f32_e32 v36, 0x3f68dda4, v46
	v_add_f32_e32 v78, v85, v81
	v_add_f32_e32 v61, v61, v77
	v_add_f32_e32 v69, v70, v69
	v_mul_f32_e32 v70, 0xbe903f40, v46
	v_add_f32_e32 v58, v58, v66
	v_add_f32_e32 v66, v37, v35
	v_mul_f32_e32 v35, 0xbe903f40, v34
	v_fmamk_f32 v37, v47, 0x3ed4b147, v36
	v_add_f32_e32 v72, v76, v78
	v_add_f32_e32 v49, v49, v61
	v_fmamk_f32 v46, v47, 0xbf75a155, v70
	v_fma_f32 v61, 0xbf75a155, v47, -v70
	v_fma_f32 v36, 0x3ed4b147, v47, -v36
	v_fmamk_f32 v47, v66, 0xbf75a155, v35
	v_add_f32_e32 v70, v37, v60
	v_mul_f32_e32 v37, 0x3f0a6770, v34
	v_fma_f32 v35, 0xbf75a155, v66, -v35
	v_add_f32_e32 v67, v67, v72
	v_add_f32_e32 v4, v36, v4
	;; [unrolled: 1-line block ×3, first 2 shown]
	v_mul_f32_e32 v36, 0xbf4178ce, v34
	v_fmamk_f32 v47, v66, 0x3f575c64, v37
	v_add_f32_e32 v71, v35, v2
	v_mul_f32_e32 v2, 0x3f68dda4, v34
	v_add_f32_e32 v46, v46, v48
	v_fma_f32 v35, 0x3f575c64, v66, -v37
	v_fmamk_f32 v37, v66, 0xbf27a4f4, v36
	v_add_f32_e32 v67, v47, v67
	v_fma_f32 v36, 0xbf27a4f4, v66, -v36
	v_fmamk_f32 v47, v66, 0x3ed4b147, v2
	v_sub_f32_e32 v60, v32, v5
	v_add_f32_e32 v72, v37, v49
	v_add_f32_e32 v61, v61, v59
	;; [unrolled: 1-line block ×5, first 2 shown]
	v_mul_f32_e32 v48, 0xbf0a6770, v60
	v_mul_f32_e32 v49, 0xbf68dda4, v60
	v_sub_f32_e32 v36, v30, v12
	v_add_f32_e32 v69, v35, v69
	v_mul_f32_e32 v5, 0xbf7d64f0, v34
	v_fma_f32 v34, 0x3ed4b147, v66, -v2
	v_fma_f32 v2, 0x3f575c64, v47, -v48
	;; [unrolled: 1-line block ×3, first 2 shown]
	v_add_f32_e32 v35, v31, v13
	v_mul_f32_e32 v58, 0xbf68dda4, v36
	v_mul_f32_e32 v59, 0xbf4178ce, v36
	v_sub_f32_e32 v30, v28, v14
	v_add_f32_e32 v2, v3, v2
	v_add_f32_e32 v12, v3, v12
	v_fma_f32 v14, 0x3ed4b147, v35, -v58
	v_fma_f32 v32, 0xbf27a4f4, v35, -v59
	v_add_f32_e32 v28, v29, v15
	v_mul_f32_e32 v37, 0xbf7d64f0, v30
	v_mul_f32_e32 v46, 0x3e903f40, v30
	v_add_f32_e32 v2, v2, v14
	v_sub_f32_e32 v16, v22, v16
	v_add_f32_e32 v78, v12, v32
	v_fma_f32 v12, 0xbe11bafb, v28, -v37
	v_fma_f32 v79, 0xbf75a155, v28, -v46
	v_add_f32_e32 v14, v23, v17
	v_mul_f32_e32 v22, 0xbf4178ce, v16
	v_mul_f32_e32 v32, 0x3f7d64f0, v16
	v_add_f32_e32 v80, v2, v12
	v_sub_f32_e32 v12, v20, v18
	v_add_f32_e32 v78, v78, v79
	v_fma_f32 v79, 0xbf27a4f4, v14, -v22
	v_fma_f32 v81, 0xbe11bafb, v14, -v32
	v_add_f32_e32 v2, v21, v19
	v_mul_f32_e32 v18, 0xbe903f40, v12
	v_mul_f32_e32 v20, 0x3f0a6770, v12
	v_fmamk_f32 v77, v66, 0xbe11bafb, v5
	v_fma_f32 v5, 0xbe11bafb, v66, -v5
	v_add_f32_e32 v66, v79, v80
	v_add_f32_e32 v78, v81, v78
	v_fma_f32 v79, 0xbf75a155, v2, -v18
	v_fma_f32 v80, 0x3f575c64, v2, -v20
	v_add_f32_e32 v61, v34, v61
	v_add_f32_e32 v70, v77, v70
	;; [unrolled: 1-line block ×5, first 2 shown]
	v_add_nc_u32_e32 v34, 55, v74
	s_waitcnt lgkmcnt(0)
	s_barrier
	buffer_gl0_inv
	ds_write2_b32 v7, v68, v63 offset1:1
	ds_write2_b32 v7, v67, v72 offset0:2 offset1:3
	ds_write2_b32 v7, v76, v70 offset0:4 offset1:5
	;; [unrolled: 1-line block ×4, first 2 shown]
	ds_write_b32 v7, v71 offset:40
	s_and_saveexec_b32 s4, s1
	s_cbranch_execz .LBB0_21
; %bb.20:
	v_add_f32_e32 v7, v3, v33
	v_mul_f32_e32 v61, 0x3ed4b147, v47
	v_mul_f32_e32 v33, 0x3f575c64, v47
	v_mul_f32_e32 v66, 0xbf27a4f4, v35
	v_mul_f32_e32 v63, 0x3ed4b147, v35
	v_add_f32_e32 v7, v7, v31
	v_mul_f32_e32 v71, 0xbf7d64f0, v60
	v_mul_f32_e32 v72, 0xbf4178ce, v60
	v_add_f32_e32 v33, v33, v48
	v_mul_f32_e32 v31, 0xbe11bafb, v28
	v_add_f32_e32 v7, v7, v29
	v_mul_f32_e32 v73, 0x3f7d64f0, v36
	v_fmamk_f32 v48, v47, 0xbe11bafb, v71
	v_add_f32_e32 v33, v3, v33
	v_mul_f32_e32 v67, 0xbf75a155, v28
	v_add_f32_e32 v7, v7, v23
	v_mul_f32_e32 v23, 0xbe903f40, v60
	v_mul_f32_e32 v60, 0x3e903f40, v36
	v_add_f32_e32 v31, v31, v37
	v_mul_f32_e32 v68, 0xbf27a4f4, v14
	v_add_f32_e32 v7, v7, v21
	v_add_f32_e32 v21, v61, v49
	v_fma_f32 v49, 0xbe11bafb, v47, -v71
	v_fmamk_f32 v61, v47, 0xbf27a4f4, v72
	v_fmamk_f32 v71, v47, 0xbf75a155, v23
	v_add_f32_e32 v7, v7, v19
	v_add_f32_e32 v21, v3, v21
	v_fma_f32 v19, 0xbf27a4f4, v47, -v72
	v_fma_f32 v23, 0xbf75a155, v47, -v23
	v_add_f32_e32 v47, v63, v58
	v_add_f32_e32 v7, v17, v7
	;; [unrolled: 1-line block ×4, first 2 shown]
	v_fmamk_f32 v58, v35, 0xbf75a155, v60
	v_mul_f32_e32 v69, 0xbe11bafb, v14
	v_add_f32_e32 v7, v15, v7
	v_add_f32_e32 v17, v21, v17
	v_mul_f32_e32 v21, 0x3f0a6770, v36
	v_add_f32_e32 v15, v3, v48
	v_add_f32_e32 v48, v3, v49
	;; [unrolled: 1-line block ×7, first 2 shown]
	v_fma_f32 v36, 0xbe11bafb, v35, -v73
	v_fmamk_f32 v47, v35, 0x3f575c64, v21
	v_fma_f32 v21, 0x3f575c64, v35, -v21
	v_add_f32_e32 v6, v6, v7
	v_fma_f32 v7, 0xbf75a155, v35, -v60
	v_fmamk_f32 v33, v35, 0xbe11bafb, v73
	v_add_f32_e32 v19, v19, v36
	v_add_f32_e32 v35, v67, v46
	v_mul_f32_e32 v36, 0x3f68dda4, v30
	v_add_f32_e32 v3, v3, v21
	v_add_f32_e32 v21, v23, v31
	v_mul_f32_e32 v23, 0xbf0a6770, v30
	v_add_f32_e32 v15, v15, v58
	v_add_f32_e32 v17, v17, v35
	v_fmamk_f32 v31, v28, 0x3ed4b147, v36
	v_fma_f32 v35, 0x3ed4b147, v28, -v36
	v_mul_f32_e32 v30, 0xbf4178ce, v30
	v_fmamk_f32 v36, v28, 0x3f575c64, v23
	v_fma_f32 v23, 0x3f575c64, v28, -v23
	v_add_f32_e32 v15, v15, v31
	v_add_f32_e32 v22, v68, v22
	v_fmamk_f32 v31, v28, 0xbf27a4f4, v30
	v_add_f32_e32 v7, v48, v7
	v_add_f32_e32 v19, v19, v23
	v_fma_f32 v23, 0xbf27a4f4, v28, -v30
	v_mul_f32_e32 v30, 0xbf0a6770, v16
	v_add_f32_e32 v28, v69, v32
	v_add_f32_e32 v21, v22, v21
	v_mul_f32_e32 v22, 0xbe903f40, v16
	v_add_f32_e32 v3, v3, v23
	v_fmamk_f32 v23, v14, 0x3f575c64, v30
	v_mul_f32_e32 v16, 0x3f68dda4, v16
	v_add_f32_e32 v33, v49, v33
	v_add_f32_e32 v17, v28, v17
	v_fma_f32 v28, 0x3f575c64, v14, -v30
	v_fmamk_f32 v30, v14, 0xbf75a155, v22
	v_fma_f32 v22, 0xbf75a155, v14, -v22
	v_add_f32_e32 v15, v23, v15
	v_fmamk_f32 v23, v14, 0x3ed4b147, v16
	v_fma_f32 v14, 0x3ed4b147, v14, -v16
	v_mul_f32_e32 v16, 0xbf4178ce, v12
	v_mul_f32_e32 v29, 0xbf75a155, v2
	v_add_f32_e32 v13, v13, v47
	v_mul_f32_e32 v70, 0x3f575c64, v2
	v_add_f32_e32 v7, v7, v35
	v_add_f32_e32 v33, v33, v36
	;; [unrolled: 1-line block ×4, first 2 shown]
	v_fmamk_f32 v14, v2, 0xbf27a4f4, v16
	v_mul_f32_e32 v22, 0x3f68dda4, v12
	v_add_f32_e32 v13, v13, v31
	v_add_f32_e32 v18, v29, v18
	v_mul_f32_e32 v12, 0xbf7d64f0, v12
	v_add_f32_e32 v20, v70, v20
	v_add_f32_e32 v7, v28, v7
	;; [unrolled: 1-line block ×4, first 2 shown]
	v_fmamk_f32 v15, v2, 0x3ed4b147, v22
	v_add_f32_e32 v13, v23, v13
	v_add_f32_e32 v18, v21, v18
	v_fmamk_f32 v21, v2, 0xbe11bafb, v12
	v_add_f32_e32 v17, v17, v20
	v_fma_f32 v16, 0xbf27a4f4, v2, -v16
	v_fma_f32 v20, 0x3ed4b147, v2, -v22
	v_fma_f32 v2, 0xbe11bafb, v2, -v12
	v_add_f32_e32 v12, v28, v15
	v_mad_u32_u24 v15, v34, 44, 0
	v_add_f32_e32 v13, v13, v21
	v_add_f32_e32 v19, v19, v20
	;; [unrolled: 1-line block ×4, first 2 shown]
	ds_write2_b32 v15, v6, v18 offset1:1
	ds_write2_b32 v15, v17, v14 offset0:2 offset1:3
	ds_write2_b32 v15, v12, v13 offset0:4 offset1:5
	;; [unrolled: 1-line block ×4, first 2 shown]
	ds_write_b32 v15, v5 offset:40
.LBB0_21:
	s_or_b32 exec_lo, exec_lo, s4
	v_add_nc_u32_e32 v6, 0x200, v62
	v_add_nc_u32_e32 v12, 0x800, v62
	;; [unrolled: 1-line block ×6, first 2 shown]
	s_waitcnt lgkmcnt(0)
	s_barrier
	buffer_gl0_inv
	ds_read2_b32 v[2:3], v62 offset1:55
	ds_read2_b32 v[22:23], v6 offset0:103 offset1:158
	ds_read2_b32 v[20:21], v7 offset0:78 offset1:133
	;; [unrolled: 1-line block ×9, first 2 shown]
                                        ; implicit-def: $vgpr67
                                        ; implicit-def: $vgpr33
	s_and_saveexec_b32 s1, s0
	s_cbranch_execz .LBB0_23
; %bb.22:
	v_add_nc_u32_e32 v4, 0x340, v62
	v_add_nc_u32_e32 v32, 0xa80, v62
	ds_read2_b32 v[4:5], v4 offset0:12 offset1:243
	ds_read2_b32 v[32:33], v32 offset0:10 offset1:241
	ds_read_b32 v67, v62 offset:4576
.LBB0_23:
	s_or_b32 exec_lo, exec_lo, s1
	v_and_b32_e32 v36, 0xff, v74
	v_add_nc_u32_e32 v35, 0xdc, v74
	v_mov_b32_e32 v37, 0xba2f
	v_and_b32_e32 v46, 0xff, v34
	v_mul_lo_u16 v36, 0x75, v36
	v_mul_u32_u24_sdwa v37, v35, v37 dst_sel:DWORD dst_unused:UNUSED_PAD src0_sel:WORD_0 src1_sel:DWORD
	v_lshrrev_b16 v47, 8, v36
	v_mul_lo_u16 v36, 0x75, v46
	v_lshrrev_b32_e32 v37, 19, v37
	v_sub_nc_u16 v46, v74, v47
	v_lshrrev_b16 v48, 8, v36
	v_mul_lo_u16 v36, v37, 11
	v_lshrrev_b16 v37, 1, v46
	v_sub_nc_u16 v46, v34, v48
	v_sub_nc_u16 v49, v35, v36
	v_add_nc_u32_e32 v36, 0x6e, v74
	v_and_b32_e32 v58, 0x7f, v37
	v_lshrrev_b16 v59, 1, v46
	v_add_nc_u32_e32 v37, 0xa5, v74
	v_and_b32_e32 v46, 0xff, v36
	v_and_b32_e32 v49, 0xffff, v49
	v_add_nc_u16 v47, v58, v47
	v_and_b32_e32 v58, 0x7f, v59
	v_mov_b32_e32 v59, 5
	v_lshlrev_b32_e32 v60, 5, v49
	v_lshrrev_b16 v61, 3, v47
	v_mul_lo_u16 v47, 0x75, v46
	v_add_nc_u16 v48, v58, v48
	v_and_b32_e32 v58, 0xff, v37
	s_clause 0x1
	global_load_dwordx4 v[68:71], v60, s[12:13]
	global_load_dwordx4 v[76:79], v60, s[12:13] offset:16
	v_mul_lo_u16 v63, v61, 11
	v_lshrrev_b16 v47, 8, v47
	v_mul_lo_u16 v58, 0x75, v58
	v_lshrrev_b16 v48, 3, v48
	v_sub_nc_u16 v60, v74, v63
	v_sub_nc_u16 v63, v36, v47
	v_lshrrev_b16 v58, 8, v58
	v_mul_lo_u16 v66, v48, 11
	v_lshlrev_b32_sdwa v72, v59, v60 dst_sel:DWORD dst_unused:UNUSED_PAD src0_sel:DWORD src1_sel:BYTE_0
	v_lshrrev_b16 v63, 1, v63
	v_sub_nc_u16 v73, v37, v58
	v_sub_nc_u16 v66, v34, v66
	s_clause 0x1
	global_load_dwordx4 v[80:83], v72, s[12:13]
	global_load_dwordx4 v[84:87], v72, s[12:13] offset:16
	v_and_b32_e32 v63, 0x7f, v63
	v_lshrrev_b16 v72, 1, v73
	v_lshlrev_b32_sdwa v92, v59, v66 dst_sel:DWORD dst_unused:UNUSED_PAD src0_sel:DWORD src1_sel:BYTE_0
	v_add_nc_u16 v47, v63, v47
	v_and_b32_e32 v63, 0x7f, v72
	global_load_dwordx4 v[88:91], v92, s[12:13]
	v_lshrrev_b16 v72, 3, v47
	v_add_nc_u16 v47, v63, v58
	v_mul_lo_u16 v58, v72, 11
	v_lshrrev_b16 v63, 3, v47
	v_sub_nc_u16 v58, v36, v58
	v_mul_lo_u16 v47, v63, 11
	v_lshlrev_b32_sdwa v73, v59, v58 dst_sel:DWORD dst_unused:UNUSED_PAD src0_sel:DWORD src1_sel:BYTE_0
	v_sub_nc_u16 v112, v37, v47
	s_clause 0x1
	global_load_dwordx4 v[96:99], v73, s[12:13]
	global_load_dwordx4 v[92:95], v92, s[12:13] offset:16
	v_lshlrev_b32_sdwa v47, v59, v112 dst_sel:DWORD dst_unused:UNUSED_PAD src0_sel:DWORD src1_sel:BYTE_0
	s_clause 0x2
	global_load_dwordx4 v[100:103], v73, s[12:13] offset:16
	global_load_dwordx4 v[104:107], v47, s[12:13]
	global_load_dwordx4 v[108:111], v47, s[12:13] offset:16
	v_mov_b32_e32 v59, 0xdc
	v_mov_b32_e32 v73, 2
	v_lshl_add_u32 v47, v49, 2, 0
	s_waitcnt vmcnt(0) lgkmcnt(0)
	s_barrier
	v_mul_u32_u24_sdwa v49, v61, v59 dst_sel:DWORD dst_unused:UNUSED_PAD src0_sel:WORD_0 src1_sel:DWORD
	v_mul_u32_u24_sdwa v48, v48, v59 dst_sel:DWORD dst_unused:UNUSED_PAD src0_sel:WORD_0 src1_sel:DWORD
	;; [unrolled: 1-line block ×3, first 2 shown]
	v_lshlrev_b32_sdwa v60, v73, v60 dst_sel:DWORD dst_unused:UNUSED_PAD src0_sel:DWORD src1_sel:BYTE_0
	v_lshlrev_b32_sdwa v61, v73, v66 dst_sel:DWORD dst_unused:UNUSED_PAD src0_sel:DWORD src1_sel:BYTE_0
	v_mul_u32_u24_sdwa v59, v63, v59 dst_sel:DWORD dst_unused:UNUSED_PAD src0_sel:WORD_0 src1_sel:DWORD
	v_lshlrev_b32_sdwa v58, v73, v58 dst_sel:DWORD dst_unused:UNUSED_PAD src0_sel:DWORD src1_sel:BYTE_0
	v_lshlrev_b32_sdwa v73, v73, v112 dst_sel:DWORD dst_unused:UNUSED_PAD src0_sel:DWORD src1_sel:BYTE_0
	v_add3_u32 v66, 0, v49, v60
	v_add3_u32 v61, 0, v48, v61
	buffer_gl0_inv
	v_add3_u32 v63, 0, v72, v58
	v_add3_u32 v60, 0, v59, v73
	v_mul_f32_e32 v72, v5, v69
	v_mul_f32_e32 v49, v1, v69
	;; [unrolled: 1-line block ×8, first 2 shown]
	v_fma_f32 v1, v1, v68, -v72
	v_fmac_f32_e32 v49, v5, v68
	v_fma_f32 v5, v64, v70, -v69
	v_fmac_f32_e32 v58, v32, v70
	;; [unrolled: 2-line block ×4, first 2 shown]
	v_mul_f32_e32 v73, v22, v81
	v_mul_f32_e32 v71, v52, v81
	;; [unrolled: 1-line block ×8, first 2 shown]
	v_fma_f32 v73, v52, v80, -v73
	v_mul_f32_e32 v78, v23, v89
	v_mul_f32_e32 v79, v21, v91
	;; [unrolled: 1-line block ×4, first 2 shown]
	v_fmac_f32_e32 v71, v22, v80
	v_fma_f32 v75, v50, v82, -v75
	v_fma_f32 v56, v56, v84, -v76
	v_fmac_f32_e32 v69, v30, v84
	v_fma_f32 v54, v54, v86, -v77
	v_fmac_f32_e32 v70, v28, v86
	v_fma_f32 v52, v53, v88, -v78
	v_fma_f32 v50, v51, v90, -v79
	v_fmac_f32_e32 v33, v21, v90
	v_fmac_f32_e32 v72, v20, v82
	;; [unrolled: 1-line block ×3, first 2 shown]
	v_sub_f32_e32 v82, v50, v52
	v_mul_f32_e32 v28, v44, v97
	v_mul_f32_e32 v81, v31, v93
	;; [unrolled: 1-line block ×6, first 2 shown]
	v_fma_f32 v51, v57, v92, -v81
	v_fmac_f32_e32 v67, v31, v92
	v_fma_f32 v53, v55, v94, -v83
	v_fmac_f32_e32 v68, v29, v94
	v_mul_f32_e32 v55, v18, v97
	v_mul_f32_e32 v57, v16, v99
	;; [unrolled: 1-line block ×14, first 2 shown]
	v_fma_f32 v44, v44, v96, -v55
	v_fmac_f32_e32 v28, v18, v96
	v_fma_f32 v18, v42, v98, -v57
	v_fmac_f32_e32 v29, v16, v98
	;; [unrolled: 2-line block ×4, first 2 shown]
	v_fma_f32 v16, v45, v104, -v78
	v_fma_f32 v12, v43, v106, -v79
	v_fmac_f32_e32 v21, v17, v106
	v_fma_f32 v14, v41, v108, -v80
	v_fmac_f32_e32 v22, v15, v108
	v_fma_f32 v15, v39, v110, -v81
	v_add_f32_e32 v17, v75, v56
	v_sub_f32_e32 v41, v73, v75
	v_sub_f32_e32 v42, v54, v56
	v_add_f32_e32 v43, v73, v54
	v_sub_f32_e32 v45, v75, v73
	v_sub_f32_e32 v55, v56, v54
	v_add_f32_e32 v57, v25, v52
	v_add_f32_e32 v76, v50, v51
	v_sub_f32_e32 v79, v52, v50
	v_sub_f32_e32 v80, v53, v51
	v_add_f32_e32 v81, v52, v53
	v_sub_f32_e32 v83, v51, v53
	v_fmac_f32_e32 v20, v19, v104
	v_fmac_f32_e32 v23, v13, v110
	v_add_f32_e32 v13, v24, v73
	v_sub_f32_e32 v19, v71, v70
	v_sub_f32_e32 v39, v72, v69
	v_sub_f32_e32 v77, v32, v68
	v_sub_f32_e32 v78, v33, v67
	v_fma_f32 v17, -0.5, v17, v24
	v_add_f32_e32 v41, v41, v42
	v_fma_f32 v24, -0.5, v43, v24
	v_add_f32_e32 v42, v45, v55
	v_add_f32_e32 v43, v57, v50
	v_fma_f32 v45, -0.5, v76, v25
	v_add_f32_e32 v55, v79, v80
	v_fmac_f32_e32 v25, -0.5, v81
	v_add_f32_e32 v57, v82, v83
	v_add_f32_e32 v76, v26, v44
	;; [unrolled: 1-line block ×3, first 2 shown]
	v_sub_f32_e32 v82, v44, v18
	v_sub_f32_e32 v83, v38, v40
	v_add_f32_e32 v84, v44, v38
	v_sub_f32_e32 v85, v18, v44
	v_sub_f32_e32 v86, v40, v38
	v_add_f32_e32 v87, v27, v16
	v_add_f32_e32 v88, v12, v14
	;; [unrolled: 1-line block ×4, first 2 shown]
	v_sub_f32_e32 v80, v28, v31
	v_sub_f32_e32 v81, v29, v30
	;; [unrolled: 1-line block ×4, first 2 shown]
	v_fmamk_f32 v96, v19, 0x3f737871, v17
	v_fmac_f32_e32 v17, 0xbf737871, v19
	v_fmamk_f32 v97, v39, 0xbf737871, v24
	v_fmac_f32_e32 v24, 0x3f737871, v39
	v_add_f32_e32 v43, v43, v51
	v_fmamk_f32 v98, v77, 0x3f737871, v45
	v_fmac_f32_e32 v45, 0xbf737871, v77
	v_fmamk_f32 v99, v78, 0xbf737871, v25
	v_fmac_f32_e32 v25, 0x3f737871, v78
	v_add_f32_e32 v76, v76, v18
	v_fma_f32 v79, -0.5, v79, v26
	v_add_f32_e32 v82, v82, v83
	v_fma_f32 v26, -0.5, v84, v26
	v_add_f32_e32 v83, v85, v86
	v_add_f32_e32 v84, v87, v12
	v_fma_f32 v85, -0.5, v88, v27
	v_fmac_f32_e32 v27, -0.5, v93
	v_sub_f32_e32 v91, v16, v12
	v_sub_f32_e32 v92, v15, v14
	;; [unrolled: 1-line block ×4, first 2 shown]
	v_add_f32_e32 v13, v13, v56
	v_fmac_f32_e32 v96, 0x3f167918, v39
	v_fmac_f32_e32 v17, 0xbf167918, v39
	;; [unrolled: 1-line block ×4, first 2 shown]
	v_add_f32_e32 v19, v43, v53
	v_fmac_f32_e32 v98, 0x3f167918, v78
	v_fmac_f32_e32 v45, 0xbf167918, v78
	;; [unrolled: 1-line block ×4, first 2 shown]
	v_add_f32_e32 v39, v76, v40
	v_fmamk_f32 v43, v80, 0x3f737871, v79
	v_fmac_f32_e32 v79, 0xbf737871, v80
	v_fmamk_f32 v76, v81, 0xbf737871, v26
	v_fmac_f32_e32 v26, 0x3f737871, v81
	v_add_f32_e32 v77, v84, v14
	v_fmamk_f32 v78, v89, 0x3f737871, v85
	v_fmac_f32_e32 v85, 0xbf737871, v89
	v_fmamk_f32 v84, v90, 0xbf737871, v27
	v_fmac_f32_e32 v27, 0x3f737871, v90
	v_add_f32_e32 v86, v91, v92
	v_add_f32_e32 v87, v94, v95
	;; [unrolled: 1-line block ×3, first 2 shown]
	v_fmac_f32_e32 v96, 0x3e9e377a, v41
	v_fmac_f32_e32 v43, 0x3f167918, v81
	;; [unrolled: 1-line block ×16, first 2 shown]
	v_add_f32_e32 v39, v39, v38
	v_add_f32_e32 v41, v77, v15
	v_fmac_f32_e32 v43, 0x3e9e377a, v82
	v_fmac_f32_e32 v79, 0x3e9e377a, v82
	;; [unrolled: 1-line block ×8, first 2 shown]
	ds_write2_b32 v66, v13, v96 offset1:11
	ds_write2_b32 v66, v97, v24 offset0:22 offset1:33
	ds_write_b32 v66, v17 offset:176
	ds_write2_b32 v61, v19, v98 offset1:11
	ds_write2_b32 v61, v99, v25 offset0:22 offset1:33
	ds_write_b32 v61, v45 offset:176
	;; [unrolled: 3-line block ×4, first 2 shown]
	s_and_saveexec_b32 s1, s0
	s_cbranch_execz .LBB0_25
; %bb.24:
	v_add_f32_e32 v13, v1, v65
	v_add_f32_e32 v24, v5, v64
	v_sub_f32_e32 v26, v49, v48
	v_add_f32_e32 v27, v0, v1
	v_sub_f32_e32 v17, v5, v1
	v_fma_f32 v13, -0.5, v13, v0
	v_fma_f32 v0, -0.5, v24, v0
	v_sub_f32_e32 v19, v64, v65
	v_sub_f32_e32 v25, v58, v59
	;; [unrolled: 1-line block ×4, first 2 shown]
	v_fmamk_f32 v41, v26, 0xbf737871, v0
	v_fmac_f32_e32 v0, 0x3f737871, v26
	v_add_f32_e32 v27, v27, v5
	v_add_f32_e32 v17, v17, v19
	v_fmamk_f32 v19, v25, 0x3f737871, v13
	v_fmac_f32_e32 v13, 0xbf737871, v25
	v_add_f32_e32 v24, v24, v39
	v_fmac_f32_e32 v0, 0x3f167918, v25
	v_add_f32_e32 v27, v27, v64
	v_fmac_f32_e32 v19, 0xbf167918, v26
	v_fmac_f32_e32 v13, 0x3f167918, v26
	;; [unrolled: 1-line block ×4, first 2 shown]
	v_add_f32_e32 v25, v27, v65
	v_add_nc_u32_e32 v26, 0x1000, v47
	v_fmac_f32_e32 v19, 0x3e9e377a, v17
	v_fmac_f32_e32 v13, 0x3e9e377a, v17
	;; [unrolled: 1-line block ×3, first 2 shown]
	ds_write2_b32 v26, v25, v0 offset0:76 offset1:87
	ds_write2_b32 v26, v13, v19 offset0:98 offset1:109
	ds_write_b32 v47, v41 offset:4576
.LBB0_25:
	s_or_b32 exec_lo, exec_lo, s1
	v_add_f32_e32 v13, v2, v71
	v_add_f32_e32 v0, v72, v69
	;; [unrolled: 1-line block ×3, first 2 shown]
	v_sub_f32_e32 v17, v73, v54
	v_sub_f32_e32 v19, v75, v56
	v_add_f32_e32 v13, v13, v72
	v_fma_f32 v0, -0.5, v0, v2
	v_fma_f32 v2, -0.5, v26, v2
	v_sub_f32_e32 v24, v71, v72
	v_sub_f32_e32 v25, v70, v69
	v_add_f32_e32 v13, v13, v69
	v_fmamk_f32 v54, v17, 0xbf737871, v0
	v_fmac_f32_e32 v0, 0x3f737871, v17
	v_fmamk_f32 v55, v19, 0x3f737871, v2
	v_add_f32_e32 v26, v33, v67
	v_add_f32_e32 v56, v13, v70
	;; [unrolled: 1-line block ×3, first 2 shown]
	v_fmac_f32_e32 v2, 0xbf737871, v19
	v_sub_f32_e32 v27, v72, v71
	v_add_f32_e32 v24, v24, v25
	v_fmac_f32_e32 v54, 0xbf167918, v19
	v_sub_f32_e32 v25, v69, v70
	v_fmac_f32_e32 v0, 0x3f167918, v19
	v_fmac_f32_e32 v55, 0xbf167918, v17
	v_add_f32_e32 v13, v13, v33
	v_fma_f32 v57, -0.5, v26, v3
	v_sub_f32_e32 v19, v52, v53
	v_fmac_f32_e32 v2, 0x3f167918, v17
	v_add_f32_e32 v17, v32, v68
	v_fmac_f32_e32 v54, 0x3e9e377a, v24
	v_add_f32_e32 v25, v27, v25
	;; [unrolled: 2-line block ×3, first 2 shown]
	v_fmamk_f32 v52, v19, 0xbf737871, v57
	v_sub_f32_e32 v24, v50, v51
	v_sub_f32_e32 v26, v32, v33
	v_sub_f32_e32 v27, v68, v67
	v_fmac_f32_e32 v3, -0.5, v17
	v_fmac_f32_e32 v57, 0x3f737871, v19
	v_fmac_f32_e32 v55, 0x3e9e377a, v25
	;; [unrolled: 1-line block ×3, first 2 shown]
	v_add_f32_e32 v51, v13, v68
	v_fmac_f32_e32 v52, 0xbf167918, v24
	v_add_f32_e32 v13, v26, v27
	v_fmamk_f32 v53, v24, 0x3f737871, v3
	v_sub_f32_e32 v17, v33, v32
	v_sub_f32_e32 v25, v67, v68
	v_fmac_f32_e32 v57, 0x3f167918, v24
	v_add_f32_e32 v26, v29, v30
	v_fmac_f32_e32 v3, 0xbf737871, v24
	v_add_f32_e32 v24, v6, v28
	;; [unrolled: 2-line block ×3, first 2 shown]
	v_fma_f32 v67, -0.5, v26, v6
	v_sub_f32_e32 v25, v44, v38
	v_fmac_f32_e32 v57, 0x3e9e377a, v13
	v_add_f32_e32 v13, v24, v29
	v_fmac_f32_e32 v53, 0xbf167918, v19
	v_fmac_f32_e32 v3, 0x3f167918, v19
	v_fmamk_f32 v68, v25, 0xbf737871, v67
	v_sub_f32_e32 v18, v18, v40
	v_sub_f32_e32 v19, v28, v29
	;; [unrolled: 1-line block ×3, first 2 shown]
	v_fmac_f32_e32 v67, 0x3f737871, v25
	v_add_f32_e32 v26, v28, v31
	v_add_f32_e32 v13, v13, v30
	v_fmac_f32_e32 v53, 0x3e9e377a, v17
	v_fmac_f32_e32 v68, 0xbf167918, v18
	v_add_f32_e32 v19, v19, v24
	v_fmac_f32_e32 v67, 0x3f167918, v18
	v_fma_f32 v6, -0.5, v26, v6
	v_fmac_f32_e32 v3, 0x3e9e377a, v17
	v_add_f32_e32 v69, v13, v31
	v_add_f32_e32 v13, v7, v20
	;; [unrolled: 1-line block ×3, first 2 shown]
	v_fmac_f32_e32 v68, 0x3e9e377a, v19
	v_fmac_f32_e32 v67, 0x3e9e377a, v19
	v_fmamk_f32 v70, v18, 0x3f737871, v6
	v_sub_f32_e32 v19, v29, v28
	v_sub_f32_e32 v24, v30, v31
	v_fmac_f32_e32 v6, 0xbf737871, v18
	v_add_f32_e32 v13, v13, v21
	v_fma_f32 v28, -0.5, v17, v7
	v_add_f32_e32 v17, v20, v23
	v_sub_f32_e32 v15, v16, v15
	v_fmac_f32_e32 v70, 0xbf167918, v25
	v_add_f32_e32 v16, v19, v24
	v_fmac_f32_e32 v6, 0x3f167918, v25
	v_add_f32_e32 v13, v13, v22
	v_sub_f32_e32 v12, v12, v14
	v_fmac_f32_e32 v7, -0.5, v17
	v_fmamk_f32 v29, v15, 0xbf737871, v28
	v_fmac_f32_e32 v70, 0x3e9e377a, v16
	v_fmac_f32_e32 v6, 0x3e9e377a, v16
	v_add_f32_e32 v71, v13, v23
	v_sub_f32_e32 v13, v20, v21
	v_sub_f32_e32 v14, v23, v22
	v_fmac_f32_e32 v28, 0x3f737871, v15
	v_fmamk_f32 v72, v12, 0x3f737871, v7
	v_sub_f32_e32 v16, v21, v20
	v_sub_f32_e32 v17, v22, v23
	v_fmac_f32_e32 v7, 0xbf737871, v12
	v_add_nc_u32_e32 v43, 0xc00, v62
	v_lshl_add_u32 v38, v74, 2, 0
	v_add_nc_u32_e32 v40, 0x200, v62
	v_add_nc_u32_e32 v42, 0x600, v62
	;; [unrolled: 1-line block ×6, first 2 shown]
	v_fmac_f32_e32 v29, 0xbf167918, v12
	v_add_f32_e32 v73, v13, v14
	v_fmac_f32_e32 v28, 0x3f167918, v12
	v_fmac_f32_e32 v72, 0xbf167918, v15
	v_add_f32_e32 v75, v16, v17
	v_fmac_f32_e32 v7, 0x3f167918, v15
	s_waitcnt lgkmcnt(0)
	s_barrier
	buffer_gl0_inv
	ds_read2_b32 v[16:17], v62 offset1:55
	ds_read2_b32 v[12:13], v62 offset0:110 offset1:165
	ds_read_b32 v50, v38 offset:1320
	ds_read2_b32 v[32:33], v42 offset0:111 offset1:166
	ds_read2_b32 v[14:15], v39 offset0:93 offset1:148
	;; [unrolled: 1-line block ×8, first 2 shown]
	v_fmac_f32_e32 v29, 0x3e9e377a, v73
	v_fmac_f32_e32 v28, 0x3e9e377a, v73
	;; [unrolled: 1-line block ×4, first 2 shown]
	s_waitcnt lgkmcnt(0)
	s_barrier
	buffer_gl0_inv
	ds_write2_b32 v66, v56, v54 offset1:11
	ds_write2_b32 v66, v55, v2 offset0:22 offset1:33
	ds_write_b32 v66, v0 offset:176
	ds_write2_b32 v61, v51, v52 offset1:11
	ds_write2_b32 v61, v53, v3 offset0:22 offset1:33
	ds_write_b32 v61, v57 offset:176
	;; [unrolled: 3-line block ×4, first 2 shown]
	s_and_saveexec_b32 s1, s0
	s_cbranch_execz .LBB0_27
; %bb.26:
	v_add_f32_e32 v0, v58, v59
	v_sub_f32_e32 v3, v5, v64
	v_add_f32_e32 v5, v49, v48
	v_add_f32_e32 v2, v4, v49
	v_sub_f32_e32 v1, v1, v65
	v_fma_f32 v0, -0.5, v0, v4
	v_sub_f32_e32 v6, v49, v58
	v_fmac_f32_e32 v4, -0.5, v5
	v_sub_f32_e32 v7, v48, v59
	v_add_f32_e32 v2, v2, v58
	v_fmamk_f32 v5, v1, 0xbf737871, v0
	v_sub_f32_e32 v28, v58, v49
	v_sub_f32_e32 v29, v59, v48
	v_fmamk_f32 v49, v3, 0x3f737871, v4
	v_fmac_f32_e32 v4, 0xbf737871, v3
	v_fmac_f32_e32 v0, 0x3f737871, v1
	v_add_f32_e32 v2, v2, v59
	v_fmac_f32_e32 v5, 0xbf167918, v3
	v_add_f32_e32 v6, v6, v7
	;; [unrolled: 2-line block ×3, first 2 shown]
	v_fmac_f32_e32 v4, 0x3f167918, v1
	v_fmac_f32_e32 v0, 0x3f167918, v3
	v_add_f32_e32 v2, v2, v48
	v_fmac_f32_e32 v5, 0x3e9e377a, v6
	v_add_nc_u32_e32 v1, 0x1000, v47
	v_fmac_f32_e32 v49, 0x3e9e377a, v7
	v_fmac_f32_e32 v4, 0x3e9e377a, v7
	;; [unrolled: 1-line block ×3, first 2 shown]
	ds_write2_b32 v1, v2, v5 offset0:76 offset1:87
	ds_write2_b32 v1, v49, v4 offset0:98 offset1:109
	ds_write_b32 v47, v0 offset:4576
.LBB0_27:
	s_or_b32 exec_lo, exec_lo, s1
	v_mul_u32_u24_e32 v0, 6, v74
	s_waitcnt lgkmcnt(0)
	s_barrier
	buffer_gl0_inv
	v_add_nc_u32_e32 v85, 0x200, v38
	v_lshlrev_b32_e32 v0, 3, v0
	s_clause 0x2
	global_load_dwordx4 v[51:54], v0, s[12:13] offset:352
	global_load_dwordx4 v[55:58], v0, s[12:13] offset:368
	;; [unrolled: 1-line block ×3, first 2 shown]
	v_mul_lo_u16 v0, 0x95, v46
	v_lshrrev_b16 v0, 13, v0
	v_mul_lo_u16 v0, v0, 55
	v_sub_nc_u16 v0, v36, v0
	v_and_b32_e32 v61, 0xff, v0
	v_mul_u32_u24_e32 v0, 6, v61
	v_lshl_add_u32 v61, v61, 2, 0
	v_lshlrev_b32_e32 v0, 3, v0
	v_add_nc_u32_e32 v86, 0xc00, v61
	v_add_nc_u32_e32 v87, 0xe00, v61
	s_clause 0x2
	global_load_dwordx4 v[46:49], v0, s[12:13] offset:352
	global_load_dwordx4 v[4:7], v0, s[12:13] offset:368
	;; [unrolled: 1-line block ×3, first 2 shown]
	ds_read2_b32 v[28:29], v62 offset0:110 offset1:165
	ds_read_b32 v73, v38 offset:1320
	ds_read2_b32 v[59:60], v42 offset0:111 offset1:166
	ds_read2_b32 v[67:68], v62 offset1:55
	ds_read2_b32 v[69:70], v39 offset0:93 offset1:148
	ds_read2_b32 v[71:72], v43 offset0:57 offset1:112
	;; [unrolled: 1-line block ×7, first 2 shown]
	s_waitcnt vmcnt(0) lgkmcnt(0)
	s_barrier
	buffer_gl0_inv
	v_mul_f32_e32 v88, v29, v52
	v_mul_f32_e32 v89, v13, v52
	v_mul_f32_e32 v90, v73, v54
	v_mul_f32_e32 v91, v50, v54
	v_mul_f32_e32 v92, v59, v56
	v_mul_f32_e32 v93, v32, v56
	v_mul_f32_e32 v94, v70, v58
	v_mul_f32_e32 v95, v15, v58
	v_mul_f32_e32 v96, v71, v64
	v_mul_f32_e32 v97, v30, v64
	v_mul_f32_e32 v98, v76, v66
	v_mul_f32_e32 v99, v19, v66
	v_mul_f32_e32 v100, v77, v52
	v_mul_f32_e32 v52, v26, v52
	v_mul_f32_e32 v101, v79, v54
	v_mul_f32_e32 v54, v24, v54
	v_mul_f32_e32 v104, v72, v64
	v_mul_f32_e32 v64, v31, v64
	v_mul_f32_e32 v105, v83, v66
	v_mul_f32_e32 v66, v20, v66
	v_mul_f32_e32 v102, v60, v56
	v_mul_f32_e32 v56, v33, v56
	v_mul_f32_e32 v103, v81, v58
	v_mul_f32_e32 v58, v22, v58
	v_fma_f32 v13, v13, v51, -v88
	v_fmac_f32_e32 v89, v29, v51
	v_fma_f32 v29, v50, v53, -v90
	v_fmac_f32_e32 v91, v73, v53
	;; [unrolled: 2-line block ×12, first 2 shown]
	v_add_f32_e32 v50, v13, v19
	v_add_f32_e32 v51, v89, v99
	v_sub_f32_e32 v13, v13, v19
	v_sub_f32_e32 v19, v89, v99
	v_add_f32_e32 v53, v29, v30
	v_add_f32_e32 v55, v91, v97
	v_sub_f32_e32 v29, v29, v30
	v_sub_f32_e32 v30, v91, v97
	;; [unrolled: 4-line block ×7, first 2 shown]
	v_sub_f32_e32 v50, v50, v57
	v_sub_f32_e32 v51, v51, v59
	;; [unrolled: 1-line block ×4, first 2 shown]
	v_add_f32_e32 v71, v15, v29
	v_add_f32_e32 v72, v32, v30
	v_sub_f32_e32 v73, v15, v29
	v_sub_f32_e32 v76, v32, v30
	v_sub_f32_e32 v29, v29, v13
	v_sub_f32_e32 v30, v30, v19
	v_add_f32_e32 v77, v52, v60
	v_add_f32_e32 v79, v65, v63
	v_sub_f32_e32 v15, v13, v15
	v_sub_f32_e32 v32, v19, v32
	v_sub_f32_e32 v81, v52, v60
	v_sub_f32_e32 v83, v65, v63
	v_sub_f32_e32 v60, v60, v54
	v_sub_f32_e32 v63, v63, v64
	v_sub_f32_e32 v52, v54, v52
	v_sub_f32_e32 v65, v64, v65
	v_add_f32_e32 v88, v22, v24
	v_add_f32_e32 v89, v33, v31
	v_sub_f32_e32 v90, v22, v24
	v_sub_f32_e32 v91, v33, v31
	;; [unrolled: 1-line block ×4, first 2 shown]
	v_add_f32_e32 v56, v57, v56
	v_add_f32_e32 v57, v59, v58
	;; [unrolled: 1-line block ×4, first 2 shown]
	v_mul_f32_e32 v50, 0x3f4a47b2, v50
	v_mul_f32_e32 v51, 0x3f4a47b2, v51
	;; [unrolled: 1-line block ×8, first 2 shown]
	v_add_f32_e32 v54, v54, v77
	v_add_f32_e32 v64, v64, v79
	v_sub_f32_e32 v22, v20, v22
	v_sub_f32_e32 v33, v26, v33
	v_add_f32_e32 v20, v88, v20
	v_add_f32_e32 v26, v89, v26
	v_mul_f32_e32 v60, 0x3f4a47b2, v60
	v_mul_f32_e32 v63, 0x3f4a47b2, v63
	;; [unrolled: 1-line block ×18, first 2 shown]
	v_add_f32_e32 v16, v16, v56
	v_add_f32_e32 v67, v67, v57
	v_fmamk_f32 v53, v53, 0x3d64c772, v50
	v_fmamk_f32 v55, v55, 0x3d64c772, v51
	v_fma_f32 v58, 0x3f3bfb3b, v66, -v58
	v_fma_f32 v59, 0x3f3bfb3b, v70, -v59
	;; [unrolled: 1-line block ×4, first 2 shown]
	v_fmamk_f32 v66, v15, 0x3eae86e6, v71
	v_fmamk_f32 v70, v32, 0x3eae86e6, v72
	v_fma_f32 v29, 0x3f5ff5aa, v29, -v71
	v_fma_f32 v30, 0x3f5ff5aa, v30, -v72
	;; [unrolled: 1-line block ×4, first 2 shown]
	v_add_f32_e32 v17, v17, v54
	v_add_f32_e32 v68, v68, v64
	v_mul_f32_e32 v47, v27, v47
	v_mul_f32_e32 v49, v25, v49
	v_fmamk_f32 v52, v52, 0x3d64c772, v60
	v_fmamk_f32 v65, v65, 0x3d64c772, v63
	v_fma_f32 v71, 0x3f3bfb3b, v81, -v77
	v_fma_f32 v72, 0x3f3bfb3b, v83, -v79
	;; [unrolled: 1-line block ×4, first 2 shown]
	v_fmamk_f32 v73, v22, 0x3eae86e6, v88
	v_fmamk_f32 v76, v33, 0x3eae86e6, v89
	v_fma_f32 v24, 0x3f5ff5aa, v24, -v88
	v_fma_f32 v31, 0x3f5ff5aa, v31, -v89
	;; [unrolled: 1-line block ×7, first 2 shown]
	v_fmac_f32_e32 v5, v69, v4
	v_fma_f32 v4, v23, v6, -v95
	v_fmac_f32_e32 v7, v82, v6
	v_fma_f32 v6, v18, v0, -v96
	;; [unrolled: 2-line block ×3, first 2 shown]
	v_fmac_f32_e32 v3, v84, v2
	v_fmamk_f32 v2, v56, 0xbf955555, v16
	v_fmamk_f32 v18, v57, 0xbf955555, v67
	v_fmac_f32_e32 v66, 0x3ee1c552, v13
	v_fmac_f32_e32 v70, 0x3ee1c552, v19
	;; [unrolled: 1-line block ×6, first 2 shown]
	v_fmamk_f32 v13, v54, 0xbf955555, v17
	v_fmamk_f32 v19, v64, 0xbf955555, v68
	v_fmac_f32_e32 v47, v78, v46
	v_fmac_f32_e32 v49, v80, v48
	;; [unrolled: 1-line block ×8, first 2 shown]
	v_add_f32_e32 v20, v53, v2
	v_add_f32_e32 v21, v55, v18
	;; [unrolled: 1-line block ×13, first 2 shown]
	v_sub_f32_e32 v0, v27, v0
	v_add_f32_e32 v27, v25, v6
	v_add_f32_e32 v53, v47, v3
	v_sub_f32_e32 v3, v47, v3
	v_add_f32_e32 v47, v49, v1
	v_sub_f32_e32 v6, v25, v6
	v_sub_f32_e32 v1, v49, v1
	v_add_f32_e32 v25, v14, v4
	v_add_f32_e32 v49, v5, v7
	v_sub_f32_e32 v4, v4, v14
	v_sub_f32_e32 v5, v7, v5
	v_add_f32_e32 v7, v70, v20
	v_sub_f32_e32 v55, v18, v15
	v_sub_f32_e32 v56, v23, v30
	v_add_f32_e32 v23, v30, v23
	v_add_f32_e32 v30, v15, v18
	v_sub_f32_e32 v15, v20, v70
	v_add_f32_e32 v20, v33, v13
	v_sub_f32_e32 v59, v19, v22
	v_sub_f32_e32 v13, v13, v33
	v_add_f32_e32 v33, v22, v19
	v_add_f32_e32 v22, v27, v52
	v_sub_f32_e32 v54, v21, v66
	v_add_f32_e32 v14, v32, v2
	v_add_f32_e32 v57, v29, v26
	v_sub_f32_e32 v29, v26, v29
	v_sub_f32_e32 v2, v2, v32
	v_add_f32_e32 v32, v66, v21
	v_add_f32_e32 v18, v76, v46
	v_sub_f32_e32 v58, v48, v73
	;; [unrolled: 4-line block ×4, first 2 shown]
	v_sub_f32_e32 v50, v47, v53
	v_sub_f32_e32 v51, v52, v25
	;; [unrolled: 1-line block ×4, first 2 shown]
	v_add_f32_e32 v53, v4, v6
	v_add_f32_e32 v63, v5, v1
	v_sub_f32_e32 v64, v4, v6
	v_sub_f32_e32 v65, v5, v1
	;; [unrolled: 1-line block ×4, first 2 shown]
	v_add_f32_e32 v22, v25, v22
	v_sub_f32_e32 v47, v49, v47
	v_sub_f32_e32 v4, v0, v4
	;; [unrolled: 1-line block ×3, first 2 shown]
	v_add_f32_e32 v24, v49, v24
	v_add_f32_e32 v0, v53, v0
	;; [unrolled: 1-line block ×3, first 2 shown]
	v_mul_f32_e32 v25, 0x3f4a47b2, v51
	v_mul_f32_e32 v49, 0x3f4a47b2, v52
	;; [unrolled: 1-line block ×7, first 2 shown]
	ds_write2_b32 v62, v16, v7 offset1:55
	ds_write2_b32 v62, v14, v56 offset0:110 offset1:165
	ds_write2_b32 v40, v23, v2 offset0:92 offset1:147
	;; [unrolled: 1-line block ×6, first 2 shown]
	v_add_f32_e32 v2, v12, v22
	v_mul_f32_e32 v52, 0x3d64c772, v47
	v_add_f32_e32 v28, v28, v24
	v_fmamk_f32 v7, v27, 0x3d64c772, v25
	v_fmamk_f32 v12, v47, 0x3d64c772, v49
	v_fma_f32 v13, 0x3f3bfb3b, v48, -v51
	v_fma_f32 v15, 0xbf3bfb3b, v48, -v25
	v_fmamk_f32 v47, v4, 0x3eae86e6, v53
	v_fmamk_f32 v17, v5, 0x3eae86e6, v63
	v_fma_f32 v6, 0x3f5ff5aa, v6, -v53
	v_fma_f32 v48, 0xbeae86e6, v4, -v64
	;; [unrolled: 1-line block ×3, first 2 shown]
	v_fmamk_f32 v5, v22, 0xbf955555, v2
	v_fma_f32 v1, 0x3f5ff5aa, v1, -v63
	v_fma_f32 v14, 0x3f3bfb3b, v50, -v52
	v_fmamk_f32 v18, v24, 0xbf955555, v28
	v_fmac_f32_e32 v47, 0x3ee1c552, v0
	v_fmac_f32_e32 v17, 0x3ee1c552, v3
	;; [unrolled: 1-line block ×4, first 2 shown]
	v_add_f32_e32 v0, v7, v5
	v_fmac_f32_e32 v1, 0x3ee1c552, v3
	v_fmac_f32_e32 v4, 0x3ee1c552, v3
	v_add_f32_e32 v7, v13, v5
	v_add_f32_e32 v5, v15, v5
	v_fma_f32 v16, 0xbf3bfb3b, v50, -v49
	v_add_f32_e32 v3, v12, v18
	v_add_f32_e32 v12, v14, v18
	;; [unrolled: 1-line block ×4, first 2 shown]
	v_sub_f32_e32 v15, v7, v1
	v_add_f32_e32 v1, v1, v7
	v_sub_f32_e32 v4, v5, v4
	v_sub_f32_e32 v0, v0, v17
	v_add_f32_e32 v49, v16, v18
	v_add_f32_e32 v52, v6, v12
	v_sub_f32_e32 v53, v12, v6
	ds_write2_b32 v86, v2, v13 offset0:2 offset1:57
	ds_write2_b32 v86, v14, v15 offset0:112 offset1:167
	;; [unrolled: 1-line block ×3, first 2 shown]
	ds_write_b32 v61, v0 offset:4400
	s_waitcnt lgkmcnt(0)
	s_barrier
	buffer_gl0_inv
	ds_read2_b32 v[4:5], v62 offset1:55
	ds_read2_b32 v[12:13], v41 offset0:129 offset1:184
	ds_read2_b32 v[26:27], v45 offset0:75 offset1:130
	;; [unrolled: 1-line block ×9, first 2 shown]
	ds_read_b32 v0, v38 offset:1320
	v_sub_f32_e32 v50, v3, v47
	v_sub_f32_e32 v51, v49, v48
	v_add_f32_e32 v1, v48, v49
	v_add_f32_e32 v2, v47, v3
	s_waitcnt lgkmcnt(0)
	s_barrier
	buffer_gl0_inv
	ds_write2_b32 v62, v67, v54 offset1:55
	ds_write2_b32 v62, v55, v57 offset0:110 offset1:165
	ds_write2_b32 v40, v29, v30 offset0:92 offset1:147
	;; [unrolled: 1-line block ×9, first 2 shown]
	ds_write_b32 v61, v2 offset:4400
	s_waitcnt lgkmcnt(0)
	s_barrier
	buffer_gl0_inv
	s_and_saveexec_b32 s0, vcc_lo
	s_cbranch_execz .LBB0_29
; %bb.28:
	v_lshlrev_b32_e32 v28, 1, v74
	v_mov_b32_e32 v3, 0
	v_mul_lo_u32 v73, s2, v11
	v_add_nc_u32_e32 v61, 0x1000, v62
	v_mul_hi_u32 v79, 0x551c979b, v74
	v_add_nc_u32_e32 v2, 0x294, v28
	v_mov_b32_e32 v29, v3
	v_add_nc_u32_e32 v84, 55, v74
	v_add_nc_u32_e32 v63, 0xa00, v62
	;; [unrolled: 1-line block ×3, first 2 shown]
	v_lshlrev_b64 v[30:31], 3, v[2:3]
	v_add_nc_u32_e32 v2, 0x226, v28
	v_lshlrev_b64 v[28:29], 3, v[28:29]
	v_add_nc_u32_e32 v75, 0xc00, v62
	v_add_nc_u32_e32 v71, 0x600, v62
	;; [unrolled: 1-line block ×3, first 2 shown]
	v_add_co_u32 v30, vcc_lo, s12, v30
	v_add_co_ci_u32_e32 v31, vcc_lo, s13, v31, vcc_lo
	v_add_co_u32 v32, vcc_lo, s12, v28
	v_add_co_ci_u32_e32 v33, vcc_lo, s13, v29, vcc_lo
	v_lshlrev_b64 v[1:2], 3, v[2:3]
	v_add_co_u32 v28, vcc_lo, 0x800, v30
	v_add_co_ci_u32_e32 v29, vcc_lo, 0, v31, vcc_lo
	v_add_co_u32 v32, vcc_lo, 0x800, v32
	v_add_co_ci_u32_e32 v33, vcc_lo, 0, v33, vcc_lo
	;; [unrolled: 2-line block ×3, first 2 shown]
	v_lshlrev_b32_e32 v2, 1, v35
	global_load_dwordx4 v[39:42], v[32:33], off offset:944
	v_add_co_u32 v32, vcc_lo, 0x800, v1
	v_add_co_ci_u32_e32 v33, vcc_lo, 0, v43, vcc_lo
	v_lshlrev_b64 v[1:2], 3, v[2:3]
	global_load_dwordx4 v[28:31], v[28:29], off offset:944
	ds_read2_b32 v[59:60], v62 offset1:55
	global_load_dwordx4 v[43:46], v[32:33], off offset:944
	v_add_nc_u32_e32 v88, 0x113, v74
	v_lshrrev_b32_e32 v79, 7, v79
	v_add_co_u32 v1, vcc_lo, s12, v1
	v_add_co_ci_u32_e32 v2, vcc_lo, s13, v2, vcc_lo
	v_add_nc_u32_e32 v85, 0x6e, v74
	v_add_co_u32 v1, vcc_lo, 0x800, v1
	v_add_co_ci_u32_e32 v2, vcc_lo, 0, v2, vcc_lo
	v_add_nc_u32_e32 v86, 0xa5, v74
	v_add_nc_u32_e32 v87, 0xdc, v74
	v_mul_hi_u32 v89, 0x551c979b, v85
	global_load_dwordx4 v[47:50], v[1:2], off offset:944
	v_lshlrev_b32_e32 v2, 1, v37
	v_mul_hi_u32 v90, 0x551c979b, v86
	v_lshlrev_b64 v[8:9], 3, v[8:9]
	v_mul_hi_u32 v91, 0x551c979b, v87
	v_add_nc_u32_e32 v104, 0x14a, v74
	v_lshlrev_b64 v[1:2], 3, v[2:3]
	v_lshrrev_b32_e32 v92, 7, v89
	v_mov_b32_e32 v80, v3
	v_mov_b32_e32 v81, v3
	v_lshrrev_b32_e32 v94, 7, v90
	v_mov_b32_e32 v82, v3
	v_add_co_u32 v1, vcc_lo, s12, v1
	v_add_co_ci_u32_e32 v2, vcc_lo, s13, v2, vcc_lo
	v_lshrrev_b32_e32 v100, 7, v91
	v_add_co_u32 v1, vcc_lo, 0x800, v1
	v_add_co_ci_u32_e32 v2, vcc_lo, 0, v2, vcc_lo
	v_mul_u32_u24_e32 v89, 0x181, v100
	v_mov_b32_e32 v83, v3
	v_mul_hi_u32 v105, 0x551c979b, v104
	global_load_dwordx4 v[51:54], v[1:2], off offset:944
	v_lshlrev_b32_e32 v2, 1, v36
	ds_read2_b32 v[36:37], v62 offset0:110 offset1:165
	v_sub_nc_u32_e32 v101, v87, v89
	v_lshlrev_b64 v[1:2], 3, v[2:3]
	v_add_co_u32 v1, vcc_lo, s12, v1
	v_add_co_ci_u32_e32 v2, vcc_lo, s13, v2, vcc_lo
	v_add_co_u32 v1, vcc_lo, 0x800, v1
	v_add_co_ci_u32_e32 v2, vcc_lo, 0, v2, vcc_lo
	global_load_dwordx4 v[55:58], v[1:2], off offset:944
	v_lshlrev_b32_e32 v2, 1, v34
	v_lshlrev_b64 v[1:2], 3, v[2:3]
	v_add_co_u32 v1, vcc_lo, s12, v1
	v_add_co_ci_u32_e32 v2, vcc_lo, s13, v2, vcc_lo
	v_add_co_u32 v1, vcc_lo, 0x800, v1
	v_add_co_ci_u32_e32 v2, vcc_lo, 0, v2, vcc_lo
	global_load_dwordx4 v[32:35], v[1:2], off offset:944
	v_mul_lo_u32 v2, s3, v10
	v_mad_u64_u32 v[10:11], null, s2, v10, 0
	ds_read_b32 v1, v38 offset:1320
	v_add_nc_u32_e32 v38, 0x200, v38
	ds_read2_b32 v[61:62], v61 offset0:21 offset1:76
	ds_read2_b32 v[63:64], v63 offset0:75 offset1:130
	;; [unrolled: 1-line block ×8, first 2 shown]
	v_mul_hi_u32 v38, 0x551c979b, v84
	v_add3_u32 v11, v11, v73, v2
	v_mul_hi_u32 v2, 0x551c979b, v88
	v_mul_u32_u24_e32 v73, 0x181, v79
	v_mul_u32_u24_e32 v79, 0x181, v94
	v_lshlrev_b64 v[10:11], 3, v[10:11]
	v_lshrrev_b32_e32 v38, 7, v38
	v_sub_nc_u32_e32 v95, v86, v79
	v_lshrrev_b32_e32 v106, 7, v2
	v_sub_nc_u32_e32 v2, v74, v73
	v_add_co_u32 v10, vcc_lo, s10, v10
	v_mul_u32_u24_e32 v73, 0x181, v38
	v_add_co_ci_u32_e32 v11, vcc_lo, s11, v11, vcc_lo
	v_lshlrev_b32_e32 v2, 3, v2
	v_add_co_u32 v107, vcc_lo, v10, v8
	v_sub_nc_u32_e32 v73, v84, v73
	v_add_co_ci_u32_e32 v108, vcc_lo, v11, v9, vcc_lo
	v_mul_u32_u24_e32 v74, 0x181, v92
	v_add_co_u32 v8, vcc_lo, v107, v2
	v_mad_u32_u24 v2, 0x483, v38, v73
	v_mul_u32_u24_e32 v90, 0x181, v106
	v_sub_nc_u32_e32 v91, v85, v74
	v_add_co_ci_u32_e32 v9, vcc_lo, 0, v108, vcc_lo
	v_lshlrev_b64 v[73:74], 3, v[2:3]
	v_add_nc_u32_e32 v79, 0x181, v2
	v_add_nc_u32_e32 v2, 0x302, v2
	v_sub_nc_u32_e32 v109, v88, v90
	v_add_co_u32 v10, vcc_lo, 0x800, v8
	v_lshlrev_b64 v[86:87], 3, v[79:80]
	v_lshlrev_b64 v[88:89], 3, v[2:3]
	v_mad_u32_u24 v2, 0x483, v92, v91
	v_add_co_ci_u32_e32 v11, vcc_lo, 0, v9, vcc_lo
	v_add_co_u32 v84, vcc_lo, 0x1800, v8
	v_lshlrev_b64 v[90:91], 3, v[2:3]
	v_add_nc_u32_e32 v80, 0x181, v2
	v_add_nc_u32_e32 v2, 0x302, v2
	v_add_co_ci_u32_e32 v85, vcc_lo, 0, v9, vcc_lo
	v_add_co_u32 v73, vcc_lo, v107, v73
	v_lshlrev_b64 v[92:93], 3, v[2:3]
	v_mad_u32_u24 v2, 0x483, v94, v95
	v_lshlrev_b64 v[79:80], 3, v[80:81]
	v_add_co_ci_u32_e32 v74, vcc_lo, v108, v74, vcc_lo
	v_add_co_u32 v86, vcc_lo, v107, v86
	v_lshlrev_b64 v[94:95], 3, v[2:3]
	v_add_nc_u32_e32 v81, 0x181, v2
	v_add_nc_u32_e32 v2, 0x302, v2
	v_add_co_ci_u32_e32 v87, vcc_lo, v108, v87, vcc_lo
	v_add_co_u32 v88, vcc_lo, v107, v88
	v_lshlrev_b64 v[98:99], 3, v[2:3]
	v_mad_u32_u24 v2, 0x483, v100, v101
	v_lshlrev_b64 v[96:97], 3, v[81:82]
	v_add_co_ci_u32_e32 v89, vcc_lo, v108, v89, vcc_lo
	v_add_co_u32 v90, vcc_lo, v107, v90
	v_add_nc_u32_e32 v82, 0x181, v2
	v_lshlrev_b64 v[100:101], 3, v[2:3]
	v_add_nc_u32_e32 v2, 0x302, v2
	v_add_co_ci_u32_e32 v91, vcc_lo, v108, v91, vcc_lo
	v_lshlrev_b64 v[81:82], 3, v[82:83]
	v_add_co_u32 v79, vcc_lo, v107, v79
	v_lshlrev_b64 v[102:103], 3, v[2:3]
	v_mad_u32_u24 v2, 0x483, v106, v109
	v_add_co_ci_u32_e32 v80, vcc_lo, v108, v80, vcc_lo
	v_add_co_u32 v92, vcc_lo, v107, v92
	v_add_co_ci_u32_e32 v93, vcc_lo, v108, v93, vcc_lo
	v_add_co_u32 v94, vcc_lo, v107, v94
	v_add_co_ci_u32_e32 v95, vcc_lo, v108, v95, vcc_lo
	v_add_co_u32 v96, vcc_lo, v107, v96
	v_add_co_ci_u32_e32 v97, vcc_lo, v108, v97, vcc_lo
	v_add_co_u32 v98, vcc_lo, v107, v98
	v_add_co_ci_u32_e32 v99, vcc_lo, v108, v99, vcc_lo
	v_add_co_u32 v100, vcc_lo, v107, v100
	v_add_co_ci_u32_e32 v101, vcc_lo, v108, v101, vcc_lo
	v_add_co_u32 v81, vcc_lo, v107, v81
	v_add_co_ci_u32_e32 v82, vcc_lo, v108, v82, vcc_lo
	s_waitcnt vmcnt(6) lgkmcnt(0)
	v_mul_f32_e32 v106, v77, v40
	v_mul_f32_e32 v109, v64, v42
	;; [unrolled: 1-line block ×4, first 2 shown]
	v_fma_f32 v12, v12, v39, -v106
	s_waitcnt vmcnt(5)
	v_mul_f32_e32 v38, v25, v31
	v_mul_f32_e32 v83, v26, v29
	;; [unrolled: 1-line block ×4, first 2 shown]
	v_fma_f32 v27, v27, v41, -v109
	v_fmac_f32_e32 v38, v62, v30
	v_fmac_f32_e32 v83, v63, v28
	v_fma_f32 v26, v26, v28, -v29
	v_fma_f32 v25, v25, v30, -v31
	s_waitcnt vmcnt(4)
	v_mul_f32_e32 v28, v23, v44
	v_mul_f32_e32 v31, v24, v46
	v_mul_f32_e32 v29, v68, v44
	v_mul_f32_e32 v30, v61, v46
	v_fmac_f32_e32 v40, v39, v77
	v_fmac_f32_e32 v42, v41, v64
	v_add_f32_e32 v39, v1, v83
	v_add_f32_e32 v46, v38, v83
	v_fmac_f32_e32 v28, v68, v43
	v_fmac_f32_e32 v31, v61, v45
	v_fma_f32 v29, v23, v43, -v29
	v_fma_f32 v43, v24, v45, -v30
	s_waitcnt vmcnt(3)
	v_mul_f32_e32 v30, v67, v48
	v_mul_f32_e32 v45, v70, v50
	;; [unrolled: 1-line block ×4, first 2 shown]
	v_add_f32_e32 v41, v0, v26
	v_sub_f32_e32 v44, v26, v25
	v_add_f32_e32 v26, v25, v26
	v_sub_f32_e32 v62, v83, v38
	v_sub_f32_e32 v61, v12, v27
	v_add_f32_e32 v63, v40, v42
	v_add_f32_e32 v64, v12, v27
	v_sub_f32_e32 v68, v40, v42
	v_add_f32_e32 v40, v40, v59
	v_add_f32_e32 v12, v4, v12
	;; [unrolled: 1-line block ×3, first 2 shown]
	v_fmac_f32_e32 v1, -0.5, v46
	v_add_f32_e32 v38, v28, v31
	v_add_f32_e32 v39, v29, v43
	;; [unrolled: 1-line block ×3, first 2 shown]
	v_fma_f32 v106, v22, v47, -v30
	v_fma_f32 v45, v21, v49, -v45
	v_fmac_f32_e32 v48, v47, v67
	v_fmac_f32_e32 v50, v49, v70
	s_waitcnt vmcnt(2)
	v_mul_f32_e32 v47, v72, v52
	v_mul_f32_e32 v49, v69, v54
	;; [unrolled: 1-line block ×4, first 2 shown]
	v_add_f32_e32 v23, v25, v41
	v_fmac_f32_e32 v0, -0.5, v26
	v_sub_f32_e32 v41, v29, v43
	v_sub_f32_e32 v46, v28, v31
	v_add_f32_e32 v77, v66, v28
	v_fma_f32 v22, -0.5, v63, v59
	v_fma_f32 v21, -0.5, v64, v4
	v_add_f32_e32 v26, v42, v40
	v_add_f32_e32 v25, v12, v27
	v_fmamk_f32 v28, v44, 0x3f5db3d7, v1
	v_fmac_f32_e32 v1, 0xbf5db3d7, v44
	v_fma_f32 v30, -0.5, v38, v66
	v_fma_f32 v29, -0.5, v39, v19
	v_add_f32_e32 v38, v83, v43
	v_add_f32_e32 v12, v48, v50
	v_sub_f32_e32 v40, v48, v50
	v_add_f32_e32 v42, v48, v65
	v_add_f32_e32 v43, v18, v106
	v_fma_f32 v44, v17, v51, -v47
	v_fma_f32 v47, v20, v53, -v49
	v_fmac_f32_e32 v52, v51, v72
	v_fmac_f32_e32 v54, v53, v69
	s_waitcnt vmcnt(1)
	v_mul_f32_e32 v48, v71, v56
	v_mul_f32_e32 v49, v76, v58
	;; [unrolled: 1-line block ×4, first 2 shown]
	v_add_f32_e32 v39, v77, v31
	v_sub_f32_e32 v4, v106, v45
	v_add_f32_e32 v31, v106, v45
	v_fmamk_f32 v20, v61, 0x3f5db3d7, v22
	v_fmamk_f32 v19, v68, 0xbf5db3d7, v21
	v_fmac_f32_e32 v22, 0xbf5db3d7, v61
	v_fmac_f32_e32 v21, 0x3f5db3d7, v68
	global_store_dwordx2 v[8:9], v[25:26], off
	v_fmamk_f32 v8, v46, 0x3f5db3d7, v29
	v_fmac_f32_e32 v29, 0xbf5db3d7, v46
	v_fma_f32 v26, -0.5, v12, v65
	v_add_f32_e32 v17, v43, v45
	v_add_f32_e32 v12, v52, v54
	;; [unrolled: 1-line block ×3, first 2 shown]
	v_fma_f32 v45, v16, v55, -v48
	v_fma_f32 v46, v15, v57, -v49
	s_waitcnt vmcnt(0)
	v_mul_f32_e32 v48, v78, v33
	v_mul_f32_e32 v49, v75, v35
	;; [unrolled: 1-line block ×4, first 2 shown]
	v_fmamk_f32 v9, v41, 0xbf5db3d7, v30
	v_fmac_f32_e32 v30, 0x3f5db3d7, v41
	v_add_f32_e32 v41, v44, v47
	v_fmac_f32_e32 v51, v55, v71
	v_fmac_f32_e32 v53, v57, v76
	v_fma_f32 v25, -0.5, v31, v18
	v_sub_f32_e32 v31, v44, v47
	global_store_dwordx2 v[10:11], v[21:22], off offset:1032
	global_store_dwordx2 v[84:85], v[19:20], off offset:16
	v_fma_f32 v16, -0.5, v12, v37
	v_add_f32_e32 v20, v54, v43
	v_fma_f32 v43, v13, v32, -v48
	v_fma_f32 v14, v14, v34, -v49
	v_fmac_f32_e32 v33, v32, v78
	v_fmac_f32_e32 v35, v34, v75
	v_fmamk_f32 v11, v4, 0x3f5db3d7, v26
	v_fmac_f32_e32 v26, 0xbf5db3d7, v4
	v_fma_f32 v15, -0.5, v41, v7
	v_add_f32_e32 v4, v51, v53
	v_add_f32_e32 v21, v45, v46
	v_add_f32_e32 v41, v6, v45
	v_fmamk_f32 v13, v31, 0x3f5db3d7, v16
	v_fmac_f32_e32 v16, 0xbf5db3d7, v31
	v_add_f32_e32 v31, v33, v35
	v_add_f32_e32 v34, v43, v14
	v_add_f32_e32 v44, v7, v44
	v_add_f32_e32 v22, v51, v36
	v_fma_f32 v7, -0.5, v4, v36
	v_fma_f32 v6, -0.5, v21, v6
	v_add_f32_e32 v21, v41, v46
	v_sub_f32_e32 v41, v33, v35
	v_add_f32_e32 v33, v33, v60
	v_add_f32_e32 v36, v5, v43
	v_sub_f32_e32 v4, v43, v14
	v_fma_f32 v32, -0.5, v31, v60
	v_fma_f32 v31, -0.5, v34, v5
	v_fmamk_f32 v10, v40, 0xbf5db3d7, v25
	v_fmac_f32_e32 v25, 0x3f5db3d7, v40
	v_sub_f32_e32 v37, v45, v46
	v_sub_f32_e32 v40, v51, v53
	v_add_f32_e32 v18, v50, v42
	v_sub_f32_e32 v42, v52, v54
	v_add_f32_e32 v34, v35, v33
	v_add_f32_e32 v33, v36, v14
	v_fmamk_f32 v36, v4, 0x3f5db3d7, v32
	v_fmamk_f32 v35, v41, 0xbf5db3d7, v31
	v_fmac_f32_e32 v32, 0xbf5db3d7, v4
	v_fmac_f32_e32 v31, 0x3f5db3d7, v41
	v_lshrrev_b32_e32 v14, 7, v105
	v_add_f32_e32 v22, v53, v22
	v_fmamk_f32 v5, v37, 0x3f5db3d7, v7
	v_fmamk_f32 v4, v40, 0xbf5db3d7, v6
	v_fmac_f32_e32 v7, 0xbf5db3d7, v37
	v_fmac_f32_e32 v6, 0x3f5db3d7, v40
	v_add_f32_e32 v19, v44, v47
	v_fmamk_f32 v12, v42, 0xbf5db3d7, v15
	v_fmac_f32_e32 v15, 0x3f5db3d7, v42
	global_store_dwordx2 v[73:74], v[33:34], off
	global_store_dwordx2 v[86:87], v[31:32], off
	;; [unrolled: 1-line block ×11, first 2 shown]
	v_lshlrev_b64 v[4:5], 3, v[2:3]
	v_mul_u32_u24_e32 v15, 0x181, v14
	v_add_co_u32 v6, vcc_lo, v107, v102
	v_add_nc_u32_e32 v12, 0x181, v2
	v_mov_b32_e32 v13, v3
	v_add_co_ci_u32_e32 v7, vcc_lo, v108, v103, vcc_lo
	v_add_co_u32 v4, vcc_lo, v107, v4
	v_add_nc_u32_e32 v2, 0x302, v2
	v_sub_nc_u32_e32 v15, v104, v15
	v_add_co_ci_u32_e32 v5, vcc_lo, v108, v5, vcc_lo
	v_lshlrev_b64 v[12:13], 3, v[12:13]
	global_store_dwordx2 v[6:7], v[10:11], off
	global_store_dwordx2 v[4:5], v[38:39], off
	v_lshlrev_b64 v[4:5], 3, v[2:3]
	v_mad_u32_u24 v2, 0x483, v14, v15
	v_fmamk_f32 v27, v62, 0xbf5db3d7, v0
	v_add_co_u32 v6, vcc_lo, v107, v12
	v_add_co_ci_u32_e32 v7, vcc_lo, v108, v13, vcc_lo
	v_add_nc_u32_e32 v12, 0x181, v2
	v_mov_b32_e32 v13, v3
	v_lshlrev_b64 v[10:11], 3, v[2:3]
	v_add_nc_u32_e32 v2, 0x302, v2
	v_add_co_u32 v4, vcc_lo, v107, v4
	v_lshlrev_b64 v[12:13], 3, v[12:13]
	v_add_co_ci_u32_e32 v5, vcc_lo, v108, v5, vcc_lo
	v_add_co_u32 v10, vcc_lo, v107, v10
	v_lshlrev_b64 v[2:3], 3, v[2:3]
	v_add_co_ci_u32_e32 v11, vcc_lo, v108, v11, vcc_lo
	v_add_co_u32 v12, vcc_lo, v107, v12
	v_add_co_ci_u32_e32 v13, vcc_lo, v108, v13, vcc_lo
	v_add_co_u32 v2, vcc_lo, v107, v2
	v_fmac_f32_e32 v0, 0x3f5db3d7, v62
	v_add_co_ci_u32_e32 v3, vcc_lo, v108, v3, vcc_lo
	global_store_dwordx2 v[6:7], v[8:9], off
	global_store_dwordx2 v[4:5], v[29:30], off
	;; [unrolled: 1-line block ×5, first 2 shown]
.LBB0_29:
	s_endpgm
	.section	.rodata,"a",@progbits
	.p2align	6, 0x0
	.amdhsa_kernel fft_rtc_fwd_len1155_factors_11_5_7_3_wgs_55_tpt_55_halfLds_sp_op_CI_CI_unitstride_sbrr_dirReg
		.amdhsa_group_segment_fixed_size 0
		.amdhsa_private_segment_fixed_size 0
		.amdhsa_kernarg_size 104
		.amdhsa_user_sgpr_count 6
		.amdhsa_user_sgpr_private_segment_buffer 1
		.amdhsa_user_sgpr_dispatch_ptr 0
		.amdhsa_user_sgpr_queue_ptr 0
		.amdhsa_user_sgpr_kernarg_segment_ptr 1
		.amdhsa_user_sgpr_dispatch_id 0
		.amdhsa_user_sgpr_flat_scratch_init 0
		.amdhsa_user_sgpr_private_segment_size 0
		.amdhsa_wavefront_size32 1
		.amdhsa_uses_dynamic_stack 0
		.amdhsa_system_sgpr_private_segment_wavefront_offset 0
		.amdhsa_system_sgpr_workgroup_id_x 1
		.amdhsa_system_sgpr_workgroup_id_y 0
		.amdhsa_system_sgpr_workgroup_id_z 0
		.amdhsa_system_sgpr_workgroup_info 0
		.amdhsa_system_vgpr_workitem_id 0
		.amdhsa_next_free_vgpr 113
		.amdhsa_next_free_sgpr 27
		.amdhsa_reserve_vcc 1
		.amdhsa_reserve_flat_scratch 0
		.amdhsa_float_round_mode_32 0
		.amdhsa_float_round_mode_16_64 0
		.amdhsa_float_denorm_mode_32 3
		.amdhsa_float_denorm_mode_16_64 3
		.amdhsa_dx10_clamp 1
		.amdhsa_ieee_mode 1
		.amdhsa_fp16_overflow 0
		.amdhsa_workgroup_processor_mode 1
		.amdhsa_memory_ordered 1
		.amdhsa_forward_progress 0
		.amdhsa_shared_vgpr_count 0
		.amdhsa_exception_fp_ieee_invalid_op 0
		.amdhsa_exception_fp_denorm_src 0
		.amdhsa_exception_fp_ieee_div_zero 0
		.amdhsa_exception_fp_ieee_overflow 0
		.amdhsa_exception_fp_ieee_underflow 0
		.amdhsa_exception_fp_ieee_inexact 0
		.amdhsa_exception_int_div_zero 0
	.end_amdhsa_kernel
	.text
.Lfunc_end0:
	.size	fft_rtc_fwd_len1155_factors_11_5_7_3_wgs_55_tpt_55_halfLds_sp_op_CI_CI_unitstride_sbrr_dirReg, .Lfunc_end0-fft_rtc_fwd_len1155_factors_11_5_7_3_wgs_55_tpt_55_halfLds_sp_op_CI_CI_unitstride_sbrr_dirReg
                                        ; -- End function
	.section	.AMDGPU.csdata,"",@progbits
; Kernel info:
; codeLenInByte = 14176
; NumSgprs: 29
; NumVgprs: 113
; ScratchSize: 0
; MemoryBound: 0
; FloatMode: 240
; IeeeMode: 1
; LDSByteSize: 0 bytes/workgroup (compile time only)
; SGPRBlocks: 3
; VGPRBlocks: 14
; NumSGPRsForWavesPerEU: 29
; NumVGPRsForWavesPerEU: 113
; Occupancy: 8
; WaveLimiterHint : 1
; COMPUTE_PGM_RSRC2:SCRATCH_EN: 0
; COMPUTE_PGM_RSRC2:USER_SGPR: 6
; COMPUTE_PGM_RSRC2:TRAP_HANDLER: 0
; COMPUTE_PGM_RSRC2:TGID_X_EN: 1
; COMPUTE_PGM_RSRC2:TGID_Y_EN: 0
; COMPUTE_PGM_RSRC2:TGID_Z_EN: 0
; COMPUTE_PGM_RSRC2:TIDIG_COMP_CNT: 0
	.text
	.p2alignl 6, 3214868480
	.fill 48, 4, 3214868480
	.type	__hip_cuid_94e3fd8a6fcc98a3,@object ; @__hip_cuid_94e3fd8a6fcc98a3
	.section	.bss,"aw",@nobits
	.globl	__hip_cuid_94e3fd8a6fcc98a3
__hip_cuid_94e3fd8a6fcc98a3:
	.byte	0                               ; 0x0
	.size	__hip_cuid_94e3fd8a6fcc98a3, 1

	.ident	"AMD clang version 19.0.0git (https://github.com/RadeonOpenCompute/llvm-project roc-6.4.0 25133 c7fe45cf4b819c5991fe208aaa96edf142730f1d)"
	.section	".note.GNU-stack","",@progbits
	.addrsig
	.addrsig_sym __hip_cuid_94e3fd8a6fcc98a3
	.amdgpu_metadata
---
amdhsa.kernels:
  - .args:
      - .actual_access:  read_only
        .address_space:  global
        .offset:         0
        .size:           8
        .value_kind:     global_buffer
      - .offset:         8
        .size:           8
        .value_kind:     by_value
      - .actual_access:  read_only
        .address_space:  global
        .offset:         16
        .size:           8
        .value_kind:     global_buffer
      - .actual_access:  read_only
        .address_space:  global
        .offset:         24
        .size:           8
        .value_kind:     global_buffer
      - .actual_access:  read_only
        .address_space:  global
        .offset:         32
        .size:           8
        .value_kind:     global_buffer
      - .offset:         40
        .size:           8
        .value_kind:     by_value
      - .actual_access:  read_only
        .address_space:  global
        .offset:         48
        .size:           8
        .value_kind:     global_buffer
      - .actual_access:  read_only
        .address_space:  global
        .offset:         56
        .size:           8
        .value_kind:     global_buffer
      - .offset:         64
        .size:           4
        .value_kind:     by_value
      - .actual_access:  read_only
        .address_space:  global
        .offset:         72
        .size:           8
        .value_kind:     global_buffer
      - .actual_access:  read_only
        .address_space:  global
        .offset:         80
        .size:           8
        .value_kind:     global_buffer
      - .actual_access:  read_only
        .address_space:  global
        .offset:         88
        .size:           8
        .value_kind:     global_buffer
      - .actual_access:  write_only
        .address_space:  global
        .offset:         96
        .size:           8
        .value_kind:     global_buffer
    .group_segment_fixed_size: 0
    .kernarg_segment_align: 8
    .kernarg_segment_size: 104
    .language:       OpenCL C
    .language_version:
      - 2
      - 0
    .max_flat_workgroup_size: 55
    .name:           fft_rtc_fwd_len1155_factors_11_5_7_3_wgs_55_tpt_55_halfLds_sp_op_CI_CI_unitstride_sbrr_dirReg
    .private_segment_fixed_size: 0
    .sgpr_count:     29
    .sgpr_spill_count: 0
    .symbol:         fft_rtc_fwd_len1155_factors_11_5_7_3_wgs_55_tpt_55_halfLds_sp_op_CI_CI_unitstride_sbrr_dirReg.kd
    .uniform_work_group_size: 1
    .uses_dynamic_stack: false
    .vgpr_count:     113
    .vgpr_spill_count: 0
    .wavefront_size: 32
    .workgroup_processor_mode: 1
amdhsa.target:   amdgcn-amd-amdhsa--gfx1030
amdhsa.version:
  - 1
  - 2
...

	.end_amdgpu_metadata
